;; amdgpu-corpus repo=ROCm/rocSPARSE kind=compiled arch=gfx1250 opt=O3
	.amdgcn_target "amdgcn-amd-amdhsa--gfx1250"
	.amdhsa_code_object_version 6
	.section	.text._ZN9rocsparseL29bsrmm_general_blockdim_kernelILj32ELj32EiiffffEEvb20rocsparse_direction_T2_S2_llNS_24const_host_device_scalarIT6_EEPKT1_PKS2_PKT3_S2_PKT4_llS5_PT5_ll16rocsparse_order_21rocsparse_index_base_b,"axG",@progbits,_ZN9rocsparseL29bsrmm_general_blockdim_kernelILj32ELj32EiiffffEEvb20rocsparse_direction_T2_S2_llNS_24const_host_device_scalarIT6_EEPKT1_PKS2_PKT3_S2_PKT4_llS5_PT5_ll16rocsparse_order_21rocsparse_index_base_b,comdat
	.globl	_ZN9rocsparseL29bsrmm_general_blockdim_kernelILj32ELj32EiiffffEEvb20rocsparse_direction_T2_S2_llNS_24const_host_device_scalarIT6_EEPKT1_PKS2_PKT3_S2_PKT4_llS5_PT5_ll16rocsparse_order_21rocsparse_index_base_b ; -- Begin function _ZN9rocsparseL29bsrmm_general_blockdim_kernelILj32ELj32EiiffffEEvb20rocsparse_direction_T2_S2_llNS_24const_host_device_scalarIT6_EEPKT1_PKS2_PKT3_S2_PKT4_llS5_PT5_ll16rocsparse_order_21rocsparse_index_base_b
	.p2align	8
	.type	_ZN9rocsparseL29bsrmm_general_blockdim_kernelILj32ELj32EiiffffEEvb20rocsparse_direction_T2_S2_llNS_24const_host_device_scalarIT6_EEPKT1_PKS2_PKT3_S2_PKT4_llS5_PT5_ll16rocsparse_order_21rocsparse_index_base_b,@function
_ZN9rocsparseL29bsrmm_general_blockdim_kernelILj32ELj32EiiffffEEvb20rocsparse_direction_T2_S2_llNS_24const_host_device_scalarIT6_EEPKT1_PKS2_PKT3_S2_PKT4_llS5_PT5_ll16rocsparse_order_21rocsparse_index_base_b: ; @_ZN9rocsparseL29bsrmm_general_blockdim_kernelILj32ELj32EiiffffEEvb20rocsparse_direction_T2_S2_llNS_24const_host_device_scalarIT6_EEPKT1_PKS2_PKT3_S2_PKT4_llS5_PT5_ll16rocsparse_order_21rocsparse_index_base_b
; %bb.0:
	s_clause 0x2
	s_load_b96 s[20:22], s[0:1], 0x80
	s_load_b64 s[2:3], s[0:1], 0x20
	s_load_b64 s[24:25], s[0:1], 0x60
	s_wait_kmcnt 0x0
	s_bitcmp1_b32 s22, 0
	s_cselect_b32 s4, -1, 0
	s_delay_alu instid0(SALU_CYCLE_1)
	s_and_b32 vcc_lo, exec_lo, s4
	s_xor_b32 s4, s4, -1
	s_cbranch_vccnz .LBB0_2
; %bb.1:
	s_load_b32 s2, s[2:3], 0x0
.LBB0_2:
	s_and_not1_b32 vcc_lo, exec_lo, s4
	s_cbranch_vccnz .LBB0_4
; %bb.3:
	s_load_b32 s24, s[24:25], 0x0
.LBB0_4:
	s_wait_kmcnt 0x0
	s_cmp_eq_f32 s2, 0
	s_cselect_b32 s3, -1, 0
	s_cmp_eq_f32 s24, 1.0
	s_cselect_b32 s4, -1, 0
	s_delay_alu instid0(SALU_CYCLE_1) | instskip(NEXT) | instid1(SALU_CYCLE_1)
	s_and_b32 s3, s3, s4
	s_and_b32 vcc_lo, exec_lo, s3
	s_mov_b32 s3, 0
	s_cbranch_vccnz .LBB0_55
; %bb.5:
	s_clause 0x1
	s_load_b128 s[16:19], s[0:1], 0x0
	s_load_b64 s[4:5], s[0:1], 0x28
	s_bfe_u32 s6, ttmp6, 0x4000c
	s_and_b32 s7, ttmp6, 15
	s_add_co_i32 s6, s6, 1
	s_getreg_b32 s12, hwreg(HW_REG_IB_STS2, 6, 4)
	s_mul_i32 s6, ttmp9, s6
	s_delay_alu instid0(SALU_CYCLE_1)
	s_add_co_i32 s7, s7, s6
	s_cmp_eq_u32 s12, 0
	s_cselect_b32 s22, ttmp9, s7
	s_wait_kmcnt 0x0
	s_cmp_lt_i32 s22, s18
	s_cselect_b32 s27, -1, 0
	s_cmp_ge_i32 s22, s18
	s_cbranch_scc0 .LBB0_8
; %bb.6:
	s_and_not1_b32 vcc_lo, exec_lo, s27
	s_mov_b32 s18, 0
	s_cbranch_vccz .LBB0_9
.LBB0_7:
	s_load_b32 s23, s[0:1], 0x40
	s_wait_kmcnt 0x0
	s_cmp_lt_i32 s23, 1
	s_cbranch_scc0 .LBB0_10
	s_branch .LBB0_55
.LBB0_8:
	s_ashr_i32 s23, s22, 31
	s_delay_alu instid0(SALU_CYCLE_1) | instskip(NEXT) | instid1(SALU_CYCLE_1)
	s_lshl_b64 s[6:7], s[22:23], 2
	s_add_nc_u64 s[6:7], s[4:5], s[6:7]
	s_load_b32 s3, s[6:7], 0x0
	s_wait_kmcnt 0x0
	s_sub_co_i32 s3, s3, s21
	s_and_not1_b32 vcc_lo, exec_lo, s27
	s_mov_b32 s18, 0
	s_cbranch_vccnz .LBB0_7
.LBB0_9:
	s_ashr_i32 s23, s22, 31
	s_delay_alu instid0(SALU_CYCLE_1) | instskip(NEXT) | instid1(SALU_CYCLE_1)
	s_lshl_b64 s[6:7], s[22:23], 2
	s_add_nc_u64 s[4:5], s[4:5], s[6:7]
	s_load_b32 s4, s[4:5], 0x4
	s_wait_kmcnt 0x0
	s_sub_co_i32 s18, s4, s21
	s_load_b32 s23, s[0:1], 0x40
	s_wait_kmcnt 0x0
	s_cmp_lt_i32 s23, 1
	s_cbranch_scc1 .LBB0_55
.LBB0_10:
	s_bitcmp1_b32 s16, 0
	s_load_b128 s[4:7], s[0:1], 0x68
	s_cselect_b32 s13, -1, 0
	s_bfe_u32 s14, ttmp6, 0x40010
	s_load_b128 s[8:11], s[0:1], 0x48
	s_add_co_i32 s14, s14, 1
	s_bfe_u32 s15, ttmp6, 0x40004
	s_mul_i32 s14, ttmp7, s14
	v_bfe_u32 v10, v0, 10, 10
	s_xor_b32 s16, s13, -1
	s_add_co_i32 s15, s15, s14
	s_cmp_eq_u32 s12, 0
	v_and_b32_e32 v11, 0x3ff, v0
	s_cselect_b32 s12, ttmp7, s15
	s_cmp_lt_i32 s3, s18
	v_lshl_add_u32 v2, s12, 5, v10
	s_load_b128 s[12:15], s[0:1], 0x30
	v_mad_u32 v0, s3, s23, v11
	v_dual_lshlrev_b32 v12, 2, v11 :: v_dual_lshlrev_b32 v13, 7, v10
	s_delay_alu instid0(VALU_DEP_3)
	v_ashrrev_i32_e32 v3, 31, v2
	s_wait_xcnt 0x0
	v_cmp_gt_i32_e64 s0, s19, v2
	s_cselect_b32 s26, -1, 0
	v_or_b32_e32 v1, 0x1000, v12
	s_cmp_lg_u32 s17, 0
	s_wait_kmcnt 0x0
	v_mul_u64_e32 v[4:5], s[10:11], v[2:3]
	v_mul_u64_e32 v[6:7], s[6:7], v[2:3]
	v_lshlrev_b64_e32 v[2:3], 2, v[2:3]
	v_mad_u32 v18, s23, v0, v10
	s_cselect_b32 s17, -1, 0
	s_and_b32 s19, s27, s0
	s_cmp_neq_f32 s24, 0
	v_dual_add_nc_u32 v14, v12, v13 :: v_dual_add_nc_u32 v17, v1, v13
	s_delay_alu instid0(VALU_DEP_3)
	v_add_nc_u64_e32 v[0:1], s[8:9], v[2:3]
	v_add_nc_u64_e32 v[2:3], s[4:5], v[2:3]
	v_add_nc_u32_e32 v15, 0x400, v12
	v_add_nc_u32_e32 v16, 0x800, v12
	;; [unrolled: 1-line block ×3, first 2 shown]
	s_cselect_b32 s27, -1, 0
	s_cmp_lg_u32 s20, 1
	s_mov_b32 s25, 0
	s_mul_i32 s22, s23, s22
	s_mul_i32 s20, s23, s23
	v_lshl_add_u64 v[4:5], v[4:5], 2, s[8:9]
	v_lshl_add_u64 v[6:7], v[6:7], 2, s[4:5]
	s_cselect_b32 s8, -1, 0
	s_lshl_b32 s9, s23, 5
	s_branch .LBB0_12
.LBB0_11:                               ;   in Loop: Header=BB0_12 Depth=1
	s_wait_xcnt 0x0
	s_or_b32 exec_lo, exec_lo, s1
	v_add_nc_u32_e32 v18, s9, v18
	s_add_co_i32 s25, s25, 32
	s_delay_alu instid0(SALU_CYCLE_1)
	s_cmp_lt_i32 s25, s23
	s_cbranch_scc0 .LBB0_55
.LBB0_12:                               ; =>This Loop Header: Depth=1
                                        ;     Child Loop BB0_15 Depth 2
                                        ;       Child Loop BB0_17 Depth 3
	v_dual_add_nc_u32 v8, s25, v11 :: v_dual_mov_b32 v20, 0
	s_and_not1_b32 vcc_lo, exec_lo, s26
	s_delay_alu instid0(VALU_DEP_1)
	v_cmp_gt_i32_e64 s1, s23, v8
	s_cbranch_vccnz .LBB0_43
; %bb.13:                               ;   in Loop: Header=BB0_12 Depth=1
	v_dual_mov_b32 v20, 0 :: v_dual_mov_b32 v9, v18
	s_mov_b32 s4, s3
	s_branch .LBB0_15
.LBB0_14:                               ;   in Loop: Header=BB0_15 Depth=2
	v_add_nc_u32_e32 v9, s20, v9
	s_add_co_i32 s4, s4, 1
	s_delay_alu instid0(SALU_CYCLE_1)
	s_cmp_ge_i32 s4, s18
	s_cbranch_scc1 .LBB0_43
.LBB0_15:                               ;   Parent Loop BB0_12 Depth=1
                                        ; =>  This Loop Header: Depth=2
                                        ;       Child Loop BB0_17 Depth 3
	s_ashr_i32 s5, s4, 31
	s_delay_alu instid0(SALU_CYCLE_1) | instskip(NEXT) | instid1(SALU_CYCLE_1)
	s_lshl_b64 s[28:29], s[4:5], 2
	s_add_nc_u64 s[28:29], s[12:13], s[28:29]
	s_load_b32 s5, s[28:29], 0x0
	s_wait_xcnt 0x0
	s_mov_b32 s28, 0
	s_wait_kmcnt 0x0
	s_sub_co_i32 s5, s5, s21
	s_delay_alu instid0(SALU_CYCLE_1)
	v_mad_u32 v21, s5, s23, v11
	s_mul_i32 s5, s4, s23
	s_branch .LBB0_17
.LBB0_16:                               ;   in Loop: Header=BB0_17 Depth=3
	s_wait_xcnt 0x0
	s_or_b32 exec_lo, exec_lo, s30
	s_wait_loadcnt 0x0
	ds_store_b32 v14, v23
	s_wait_dscnt 0x0
	s_barrier_signal -1
	s_barrier_wait -1
	ds_load_2addr_b32 v[30:31], v12 offset1:32
	ds_load_b128 v[22:25], v13 offset:4096
	ds_load_2addr_b32 v[32:33], v12 offset0:64 offset1:96
	ds_load_b128 v[26:29], v13 offset:4112
	ds_load_2addr_b32 v[34:35], v12 offset0:128 offset1:160
	s_add_co_i32 s28, s28, 32
	s_delay_alu instid0(SALU_CYCLE_1) | instskip(SKIP_2) | instid1(VALU_DEP_1)
	s_cmp_ge_i32 s28, s23
	s_wait_dscnt 0x3
	v_fmac_f32_e32 v20, v30, v22
	v_fmac_f32_e32 v20, v31, v23
	ds_load_2addr_b32 v[30:31], v12 offset0:192 offset1:224
	s_wait_dscnt 0x3
	v_fmac_f32_e32 v20, v32, v24
	s_delay_alu instid0(VALU_DEP_1) | instskip(SKIP_4) | instid1(VALU_DEP_1)
	v_fmac_f32_e32 v20, v33, v25
	ds_load_b128 v[22:25], v13 offset:4128
	ds_load_2addr_b32 v[32:33], v15 offset1:32
	s_wait_dscnt 0x3
	v_fmac_f32_e32 v20, v34, v26
	v_fmac_f32_e32 v20, v35, v27
	ds_load_2addr_b32 v[34:35], v15 offset0:64 offset1:96
	s_wait_dscnt 0x3
	v_fmac_f32_e32 v20, v30, v28
	s_delay_alu instid0(VALU_DEP_1) | instskip(SKIP_4) | instid1(VALU_DEP_1)
	v_fmac_f32_e32 v20, v31, v29
	ds_load_b128 v[26:29], v13 offset:4144
	ds_load_2addr_b32 v[30:31], v15 offset0:128 offset1:160
	s_wait_dscnt 0x3
	v_fmac_f32_e32 v20, v32, v22
	v_fmac_f32_e32 v20, v33, v23
	ds_load_2addr_b32 v[32:33], v15 offset0:192 offset1:224
	s_wait_dscnt 0x3
	v_fmac_f32_e32 v20, v34, v24
	s_delay_alu instid0(VALU_DEP_1) | instskip(SKIP_4) | instid1(VALU_DEP_1)
	v_fmac_f32_e32 v20, v35, v25
	ds_load_2addr_b32 v[34:35], v16 offset1:32
	ds_load_b128 v[22:25], v13 offset:4160
	s_wait_dscnt 0x3
	v_fmac_f32_e32 v20, v30, v26
	v_fmac_f32_e32 v20, v31, v27
	ds_load_2addr_b32 v[30:31], v16 offset0:64 offset1:96
	s_wait_dscnt 0x3
	v_fmac_f32_e32 v20, v32, v28
	s_delay_alu instid0(VALU_DEP_1) | instskip(SKIP_4) | instid1(VALU_DEP_1)
	v_fmac_f32_e32 v20, v33, v29
	ds_load_2addr_b32 v[32:33], v16 offset0:128 offset1:160
	ds_load_b128 v[26:29], v13 offset:4176
	s_wait_dscnt 0x3
	v_fmac_f32_e32 v20, v34, v22
	v_fmac_f32_e32 v20, v35, v23
	ds_load_2addr_b32 v[34:35], v16 offset0:192 offset1:224
	s_wait_dscnt 0x3
	v_fmac_f32_e32 v20, v30, v24
	s_delay_alu instid0(VALU_DEP_1) | instskip(SKIP_4) | instid1(VALU_DEP_1)
	v_fmac_f32_e32 v20, v31, v25
	ds_load_2addr_b32 v[30:31], v19 offset1:32
	ds_load_b128 v[22:25], v13 offset:4192
	s_wait_dscnt 0x3
	v_fmac_f32_e32 v20, v32, v26
	v_fmac_f32_e32 v20, v33, v27
	ds_load_2addr_b32 v[32:33], v19 offset0:64 offset1:96
	s_wait_dscnt 0x3
	v_fmac_f32_e32 v20, v34, v28
	s_delay_alu instid0(VALU_DEP_1) | instskip(SKIP_4) | instid1(VALU_DEP_1)
	v_fmac_f32_e32 v20, v35, v29
	ds_load_2addr_b32 v[34:35], v19 offset0:128 offset1:160
	ds_load_b128 v[26:29], v13 offset:4208
	s_wait_dscnt 0x3
	v_fmac_f32_e32 v20, v30, v22
	v_fmac_f32_e32 v20, v31, v23
	ds_load_2addr_b32 v[22:23], v19 offset0:192 offset1:224
	s_wait_dscnt 0x0
	s_barrier_signal -1
	s_barrier_wait -1
	v_fmac_f32_e32 v20, v32, v24
	s_delay_alu instid0(VALU_DEP_1) | instskip(NEXT) | instid1(VALU_DEP_1)
	v_fmac_f32_e32 v20, v33, v25
	v_fmac_f32_e32 v20, v34, v26
	s_delay_alu instid0(VALU_DEP_1) | instskip(NEXT) | instid1(VALU_DEP_1)
	v_fmac_f32_e32 v20, v35, v27
	v_fmac_f32_e32 v20, v22, v28
	s_delay_alu instid0(VALU_DEP_1)
	v_fmac_f32_e32 v20, v23, v29
	s_cbranch_scc1 .LBB0_14
.LBB0_17:                               ;   Parent Loop BB0_12 Depth=1
                                        ;     Parent Loop BB0_15 Depth=2
                                        ; =>    This Inner Loop Header: Depth=3
	s_and_b32 vcc_lo, exec_lo, s16
	s_mov_b32 s29, -1
                                        ; implicit-def: $vgpr22
	s_cbranch_vccnz .LBB0_26
; %bb.18:                               ;   in Loop: Header=BB0_17 Depth=3
	s_and_not1_b32 vcc_lo, exec_lo, s29
	s_cbranch_vccz .LBB0_31
.LBB0_19:                               ;   in Loop: Header=BB0_17 Depth=3
	s_and_b32 vcc_lo, exec_lo, s17
	s_wait_loadcnt 0x0
	ds_store_b32 v17, v22
	s_cbranch_vccz .LBB0_36
.LBB0_20:                               ;   in Loop: Header=BB0_17 Depth=3
	s_mov_b32 s30, 0
	s_mov_b32 s29, 0
                                        ; implicit-def: $vgpr22
	s_and_saveexec_b32 s31, s1
	s_cbranch_execz .LBB0_24
; %bb.21:                               ;   in Loop: Header=BB0_17 Depth=3
	v_add_nc_u32_e32 v23, s28, v10
	s_mov_b32 s33, exec_lo
                                        ; implicit-def: $vgpr22
	s_delay_alu instid0(VALU_DEP_1)
	v_cmpx_gt_i32_e64 s23, v23
	s_xor_b32 s33, exec_lo, s33
; %bb.22:                               ;   in Loop: Header=BB0_17 Depth=3
	v_add_nc_u32_e32 v22, s5, v23
	s_mov_b32 s29, exec_lo
	s_delay_alu instid0(VALU_DEP_1)
	v_mad_u32 v22, v22, s23, v8
; %bb.23:                               ;   in Loop: Header=BB0_17 Depth=3
	s_or_b32 exec_lo, exec_lo, s33
	s_delay_alu instid0(SALU_CYCLE_1)
	s_and_b32 s29, s29, exec_lo
.LBB0_24:                               ;   in Loop: Header=BB0_17 Depth=3
	s_or_b32 exec_lo, exec_lo, s31
	s_delay_alu instid0(SALU_CYCLE_1)
	s_and_b32 vcc_lo, exec_lo, s30
	s_cbranch_vccnz .LBB0_37
.LBB0_25:                               ;   in Loop: Header=BB0_17 Depth=3
	v_mov_b32_e32 v23, 0
	s_and_saveexec_b32 s30, s29
	s_cbranch_execz .LBB0_16
	s_branch .LBB0_42
.LBB0_26:                               ;   in Loop: Header=BB0_17 Depth=3
	v_mov_b32_e32 v22, 0
	s_and_saveexec_b32 s29, s0
	s_cbranch_execz .LBB0_30
; %bb.27:                               ;   in Loop: Header=BB0_17 Depth=3
	v_add_nc_u32_e32 v22, s28, v11
	s_delay_alu instid0(VALU_DEP_1)
	v_cmp_gt_i32_e32 vcc_lo, s23, v22
	v_mov_b32_e32 v22, 0
	s_and_saveexec_b32 s30, vcc_lo
	s_cbranch_execz .LBB0_29
; %bb.28:                               ;   in Loop: Header=BB0_17 Depth=3
	v_add_nc_u32_e32 v22, s28, v21
	s_delay_alu instid0(VALU_DEP_1) | instskip(NEXT) | instid1(VALU_DEP_1)
	v_ashrrev_i32_e32 v23, 31, v22
	v_mul_u64_e32 v[22:23], s[10:11], v[22:23]
	s_delay_alu instid0(VALU_DEP_1)
	v_lshl_add_u64 v[22:23], v[22:23], 2, v[0:1]
	global_load_b32 v22, v[22:23], off
.LBB0_29:                               ;   in Loop: Header=BB0_17 Depth=3
	s_wait_xcnt 0x0
	s_or_b32 exec_lo, exec_lo, s30
.LBB0_30:                               ;   in Loop: Header=BB0_17 Depth=3
	s_delay_alu instid0(SALU_CYCLE_1)
	s_or_b32 exec_lo, exec_lo, s29
	s_cbranch_execnz .LBB0_19
.LBB0_31:                               ;   in Loop: Header=BB0_17 Depth=3
	s_wait_loadcnt 0x0
	v_mov_b32_e32 v22, 0
	s_and_saveexec_b32 s29, s0
	s_cbranch_execz .LBB0_35
; %bb.32:                               ;   in Loop: Header=BB0_17 Depth=3
	v_add_nc_u32_e32 v22, s28, v11
	s_delay_alu instid0(VALU_DEP_1)
	v_cmp_gt_i32_e32 vcc_lo, s23, v22
	v_mov_b32_e32 v22, 0
	s_and_saveexec_b32 s30, vcc_lo
	s_cbranch_execz .LBB0_34
; %bb.33:                               ;   in Loop: Header=BB0_17 Depth=3
	v_add_nc_u32_e32 v22, s28, v21
	s_delay_alu instid0(VALU_DEP_1) | instskip(NEXT) | instid1(VALU_DEP_1)
	v_ashrrev_i32_e32 v23, 31, v22
	v_lshl_add_u64 v[22:23], v[22:23], 2, v[4:5]
	global_load_b32 v22, v[22:23], off
.LBB0_34:                               ;   in Loop: Header=BB0_17 Depth=3
	s_wait_xcnt 0x0
	s_or_b32 exec_lo, exec_lo, s30
.LBB0_35:                               ;   in Loop: Header=BB0_17 Depth=3
	s_delay_alu instid0(SALU_CYCLE_1) | instskip(NEXT) | instid1(SALU_CYCLE_1)
	s_or_b32 exec_lo, exec_lo, s29
	s_and_b32 vcc_lo, exec_lo, s17
	s_wait_loadcnt 0x0
	ds_store_b32 v17, v22
	s_cbranch_vccnz .LBB0_20
.LBB0_36:                               ;   in Loop: Header=BB0_17 Depth=3
	s_mov_b32 s29, 0
                                        ; implicit-def: $vgpr22
	s_cbranch_execz .LBB0_25
.LBB0_37:                               ;   in Loop: Header=BB0_17 Depth=3
                                        ; implicit-def: $vgpr22
	s_and_saveexec_b32 s30, s1
	s_cbranch_execz .LBB0_41
; %bb.38:                               ;   in Loop: Header=BB0_17 Depth=3
	v_add_nc_u32_e32 v22, s28, v10
	s_mov_b32 s31, s29
	s_delay_alu instid0(VALU_DEP_1)
	v_cmp_gt_i32_e32 vcc_lo, s23, v22
                                        ; implicit-def: $vgpr22
	s_and_saveexec_b32 s33, vcc_lo
; %bb.39:                               ;   in Loop: Header=BB0_17 Depth=3
	v_add_nc_u32_e32 v22, s28, v9
	s_or_b32 s31, s29, exec_lo
; %bb.40:                               ;   in Loop: Header=BB0_17 Depth=3
	s_or_b32 exec_lo, exec_lo, s33
	s_delay_alu instid0(SALU_CYCLE_1) | instskip(SKIP_1) | instid1(SALU_CYCLE_1)
	s_and_not1_b32 s29, s29, exec_lo
	s_and_b32 s31, s31, exec_lo
	s_or_b32 s29, s29, s31
.LBB0_41:                               ;   in Loop: Header=BB0_17 Depth=3
	s_or_b32 exec_lo, exec_lo, s30
	v_mov_b32_e32 v23, 0
	s_and_saveexec_b32 s30, s29
	s_cbranch_execz .LBB0_16
.LBB0_42:                               ;   in Loop: Header=BB0_17 Depth=3
	global_load_b32 v23, v22, s[14:15] scale_offset
	s_branch .LBB0_16
.LBB0_43:                               ;   in Loop: Header=BB0_12 Depth=1
	v_cmp_gt_i32_e32 vcc_lo, s23, v8
	s_and_b32 s4, s19, vcc_lo
	s_delay_alu instid0(SALU_CYCLE_1)
	s_and_saveexec_b32 s1, s4
	s_cbranch_execz .LBB0_11
; %bb.44:                               ;   in Loop: Header=BB0_12 Depth=1
	v_add_nc_u32_e32 v8, s22, v8
	s_and_b32 vcc_lo, exec_lo, s27
	s_delay_alu instid0(VALU_DEP_1)
	v_ashrrev_i32_e32 v9, 31, v8
	s_cbranch_vccz .LBB0_50
; %bb.45:                               ;   in Loop: Header=BB0_12 Depth=1
	s_and_b32 vcc_lo, exec_lo, s8
	s_mov_b32 s4, -1
	s_cbranch_vccz .LBB0_47
; %bb.46:                               ;   in Loop: Header=BB0_12 Depth=1
	v_mul_u64_e32 v[22:23], s[6:7], v[8:9]
	v_mul_f32_e32 v24, s2, v20
	s_mov_b32 s4, 0
	s_delay_alu instid0(VALU_DEP_2)
	v_lshl_add_u64 v[22:23], v[22:23], 2, v[2:3]
	global_load_b32 v21, v[22:23], off
	s_wait_loadcnt 0x0
	v_fmac_f32_e32 v24, s24, v21
	global_store_b32 v[22:23], v24, off
.LBB0_47:                               ;   in Loop: Header=BB0_12 Depth=1
	s_and_not1_b32 vcc_lo, exec_lo, s4
	s_cbranch_vccnz .LBB0_49
; %bb.48:                               ;   in Loop: Header=BB0_12 Depth=1
	s_wait_xcnt 0x0
	v_lshl_add_u64 v[22:23], v[8:9], 2, v[6:7]
	v_mul_f32_e32 v24, s2, v20
	global_load_b32 v21, v[22:23], off
	s_wait_loadcnt 0x0
	v_fmac_f32_e32 v24, s24, v21
	global_store_b32 v[22:23], v24, off
.LBB0_49:                               ;   in Loop: Header=BB0_12 Depth=1
	s_cbranch_execnz .LBB0_11
	s_branch .LBB0_51
.LBB0_50:                               ;   in Loop: Header=BB0_12 Depth=1
.LBB0_51:                               ;   in Loop: Header=BB0_12 Depth=1
	v_mul_f32_e32 v20, s2, v20
	s_and_b32 vcc_lo, exec_lo, s8
	s_mov_b32 s4, -1
	s_cbranch_vccz .LBB0_53
; %bb.52:                               ;   in Loop: Header=BB0_12 Depth=1
	s_wait_xcnt 0x0
	v_mul_u64_e32 v[22:23], s[6:7], v[8:9]
	s_mov_b32 s4, 0
	s_delay_alu instid0(VALU_DEP_1)
	v_lshl_add_u64 v[22:23], v[22:23], 2, v[2:3]
	global_store_b32 v[22:23], v20, off
.LBB0_53:                               ;   in Loop: Header=BB0_12 Depth=1
	s_and_not1_b32 vcc_lo, exec_lo, s4
	s_cbranch_vccnz .LBB0_11
; %bb.54:                               ;   in Loop: Header=BB0_12 Depth=1
	v_lshl_add_u64 v[8:9], v[8:9], 2, v[6:7]
	global_store_b32 v[8:9], v20, off
	s_branch .LBB0_11
.LBB0_55:
	s_endpgm
	.section	.rodata,"a",@progbits
	.p2align	6, 0x0
	.amdhsa_kernel _ZN9rocsparseL29bsrmm_general_blockdim_kernelILj32ELj32EiiffffEEvb20rocsparse_direction_T2_S2_llNS_24const_host_device_scalarIT6_EEPKT1_PKS2_PKT3_S2_PKT4_llS5_PT5_ll16rocsparse_order_21rocsparse_index_base_b
		.amdhsa_group_segment_fixed_size 8192
		.amdhsa_private_segment_fixed_size 0
		.amdhsa_kernarg_size 140
		.amdhsa_user_sgpr_count 2
		.amdhsa_user_sgpr_dispatch_ptr 0
		.amdhsa_user_sgpr_queue_ptr 0
		.amdhsa_user_sgpr_kernarg_segment_ptr 1
		.amdhsa_user_sgpr_dispatch_id 0
		.amdhsa_user_sgpr_kernarg_preload_length 0
		.amdhsa_user_sgpr_kernarg_preload_offset 0
		.amdhsa_user_sgpr_private_segment_size 0
		.amdhsa_wavefront_size32 1
		.amdhsa_uses_dynamic_stack 0
		.amdhsa_enable_private_segment 0
		.amdhsa_system_sgpr_workgroup_id_x 1
		.amdhsa_system_sgpr_workgroup_id_y 1
		.amdhsa_system_sgpr_workgroup_id_z 0
		.amdhsa_system_sgpr_workgroup_info 0
		.amdhsa_system_vgpr_workitem_id 1
		.amdhsa_next_free_vgpr 36
		.amdhsa_next_free_sgpr 34
		.amdhsa_named_barrier_count 0
		.amdhsa_reserve_vcc 1
		.amdhsa_float_round_mode_32 0
		.amdhsa_float_round_mode_16_64 0
		.amdhsa_float_denorm_mode_32 3
		.amdhsa_float_denorm_mode_16_64 3
		.amdhsa_fp16_overflow 0
		.amdhsa_memory_ordered 1
		.amdhsa_forward_progress 1
		.amdhsa_inst_pref_size 16
		.amdhsa_round_robin_scheduling 0
		.amdhsa_exception_fp_ieee_invalid_op 0
		.amdhsa_exception_fp_denorm_src 0
		.amdhsa_exception_fp_ieee_div_zero 0
		.amdhsa_exception_fp_ieee_overflow 0
		.amdhsa_exception_fp_ieee_underflow 0
		.amdhsa_exception_fp_ieee_inexact 0
		.amdhsa_exception_int_div_zero 0
	.end_amdhsa_kernel
	.section	.text._ZN9rocsparseL29bsrmm_general_blockdim_kernelILj32ELj32EiiffffEEvb20rocsparse_direction_T2_S2_llNS_24const_host_device_scalarIT6_EEPKT1_PKS2_PKT3_S2_PKT4_llS5_PT5_ll16rocsparse_order_21rocsparse_index_base_b,"axG",@progbits,_ZN9rocsparseL29bsrmm_general_blockdim_kernelILj32ELj32EiiffffEEvb20rocsparse_direction_T2_S2_llNS_24const_host_device_scalarIT6_EEPKT1_PKS2_PKT3_S2_PKT4_llS5_PT5_ll16rocsparse_order_21rocsparse_index_base_b,comdat
.Lfunc_end0:
	.size	_ZN9rocsparseL29bsrmm_general_blockdim_kernelILj32ELj32EiiffffEEvb20rocsparse_direction_T2_S2_llNS_24const_host_device_scalarIT6_EEPKT1_PKS2_PKT3_S2_PKT4_llS5_PT5_ll16rocsparse_order_21rocsparse_index_base_b, .Lfunc_end0-_ZN9rocsparseL29bsrmm_general_blockdim_kernelILj32ELj32EiiffffEEvb20rocsparse_direction_T2_S2_llNS_24const_host_device_scalarIT6_EEPKT1_PKS2_PKT3_S2_PKT4_llS5_PT5_ll16rocsparse_order_21rocsparse_index_base_b
                                        ; -- End function
	.set _ZN9rocsparseL29bsrmm_general_blockdim_kernelILj32ELj32EiiffffEEvb20rocsparse_direction_T2_S2_llNS_24const_host_device_scalarIT6_EEPKT1_PKS2_PKT3_S2_PKT4_llS5_PT5_ll16rocsparse_order_21rocsparse_index_base_b.num_vgpr, 36
	.set _ZN9rocsparseL29bsrmm_general_blockdim_kernelILj32ELj32EiiffffEEvb20rocsparse_direction_T2_S2_llNS_24const_host_device_scalarIT6_EEPKT1_PKS2_PKT3_S2_PKT4_llS5_PT5_ll16rocsparse_order_21rocsparse_index_base_b.num_agpr, 0
	.set _ZN9rocsparseL29bsrmm_general_blockdim_kernelILj32ELj32EiiffffEEvb20rocsparse_direction_T2_S2_llNS_24const_host_device_scalarIT6_EEPKT1_PKS2_PKT3_S2_PKT4_llS5_PT5_ll16rocsparse_order_21rocsparse_index_base_b.numbered_sgpr, 34
	.set _ZN9rocsparseL29bsrmm_general_blockdim_kernelILj32ELj32EiiffffEEvb20rocsparse_direction_T2_S2_llNS_24const_host_device_scalarIT6_EEPKT1_PKS2_PKT3_S2_PKT4_llS5_PT5_ll16rocsparse_order_21rocsparse_index_base_b.num_named_barrier, 0
	.set _ZN9rocsparseL29bsrmm_general_blockdim_kernelILj32ELj32EiiffffEEvb20rocsparse_direction_T2_S2_llNS_24const_host_device_scalarIT6_EEPKT1_PKS2_PKT3_S2_PKT4_llS5_PT5_ll16rocsparse_order_21rocsparse_index_base_b.private_seg_size, 0
	.set _ZN9rocsparseL29bsrmm_general_blockdim_kernelILj32ELj32EiiffffEEvb20rocsparse_direction_T2_S2_llNS_24const_host_device_scalarIT6_EEPKT1_PKS2_PKT3_S2_PKT4_llS5_PT5_ll16rocsparse_order_21rocsparse_index_base_b.uses_vcc, 1
	.set _ZN9rocsparseL29bsrmm_general_blockdim_kernelILj32ELj32EiiffffEEvb20rocsparse_direction_T2_S2_llNS_24const_host_device_scalarIT6_EEPKT1_PKS2_PKT3_S2_PKT4_llS5_PT5_ll16rocsparse_order_21rocsparse_index_base_b.uses_flat_scratch, 0
	.set _ZN9rocsparseL29bsrmm_general_blockdim_kernelILj32ELj32EiiffffEEvb20rocsparse_direction_T2_S2_llNS_24const_host_device_scalarIT6_EEPKT1_PKS2_PKT3_S2_PKT4_llS5_PT5_ll16rocsparse_order_21rocsparse_index_base_b.has_dyn_sized_stack, 0
	.set _ZN9rocsparseL29bsrmm_general_blockdim_kernelILj32ELj32EiiffffEEvb20rocsparse_direction_T2_S2_llNS_24const_host_device_scalarIT6_EEPKT1_PKS2_PKT3_S2_PKT4_llS5_PT5_ll16rocsparse_order_21rocsparse_index_base_b.has_recursion, 0
	.set _ZN9rocsparseL29bsrmm_general_blockdim_kernelILj32ELj32EiiffffEEvb20rocsparse_direction_T2_S2_llNS_24const_host_device_scalarIT6_EEPKT1_PKS2_PKT3_S2_PKT4_llS5_PT5_ll16rocsparse_order_21rocsparse_index_base_b.has_indirect_call, 0
	.section	.AMDGPU.csdata,"",@progbits
; Kernel info:
; codeLenInByte = 1948
; TotalNumSgprs: 36
; NumVgprs: 36
; ScratchSize: 0
; MemoryBound: 0
; FloatMode: 240
; IeeeMode: 1
; LDSByteSize: 8192 bytes/workgroup (compile time only)
; SGPRBlocks: 0
; VGPRBlocks: 2
; NumSGPRsForWavesPerEU: 36
; NumVGPRsForWavesPerEU: 36
; NamedBarCnt: 0
; Occupancy: 16
; WaveLimiterHint : 1
; COMPUTE_PGM_RSRC2:SCRATCH_EN: 0
; COMPUTE_PGM_RSRC2:USER_SGPR: 2
; COMPUTE_PGM_RSRC2:TRAP_HANDLER: 0
; COMPUTE_PGM_RSRC2:TGID_X_EN: 1
; COMPUTE_PGM_RSRC2:TGID_Y_EN: 1
; COMPUTE_PGM_RSRC2:TGID_Z_EN: 0
; COMPUTE_PGM_RSRC2:TIDIG_COMP_CNT: 1
	.section	.text._ZN9rocsparseL29bsrmm_general_blockdim_kernelILj32ELj32EliffffEEvb20rocsparse_direction_T2_S2_llNS_24const_host_device_scalarIT6_EEPKT1_PKS2_PKT3_S2_PKT4_llS5_PT5_ll16rocsparse_order_21rocsparse_index_base_b,"axG",@progbits,_ZN9rocsparseL29bsrmm_general_blockdim_kernelILj32ELj32EliffffEEvb20rocsparse_direction_T2_S2_llNS_24const_host_device_scalarIT6_EEPKT1_PKS2_PKT3_S2_PKT4_llS5_PT5_ll16rocsparse_order_21rocsparse_index_base_b,comdat
	.globl	_ZN9rocsparseL29bsrmm_general_blockdim_kernelILj32ELj32EliffffEEvb20rocsparse_direction_T2_S2_llNS_24const_host_device_scalarIT6_EEPKT1_PKS2_PKT3_S2_PKT4_llS5_PT5_ll16rocsparse_order_21rocsparse_index_base_b ; -- Begin function _ZN9rocsparseL29bsrmm_general_blockdim_kernelILj32ELj32EliffffEEvb20rocsparse_direction_T2_S2_llNS_24const_host_device_scalarIT6_EEPKT1_PKS2_PKT3_S2_PKT4_llS5_PT5_ll16rocsparse_order_21rocsparse_index_base_b
	.p2align	8
	.type	_ZN9rocsparseL29bsrmm_general_blockdim_kernelILj32ELj32EliffffEEvb20rocsparse_direction_T2_S2_llNS_24const_host_device_scalarIT6_EEPKT1_PKS2_PKT3_S2_PKT4_llS5_PT5_ll16rocsparse_order_21rocsparse_index_base_b,@function
_ZN9rocsparseL29bsrmm_general_blockdim_kernelILj32ELj32EliffffEEvb20rocsparse_direction_T2_S2_llNS_24const_host_device_scalarIT6_EEPKT1_PKS2_PKT3_S2_PKT4_llS5_PT5_ll16rocsparse_order_21rocsparse_index_base_b: ; @_ZN9rocsparseL29bsrmm_general_blockdim_kernelILj32ELj32EliffffEEvb20rocsparse_direction_T2_S2_llNS_24const_host_device_scalarIT6_EEPKT1_PKS2_PKT3_S2_PKT4_llS5_PT5_ll16rocsparse_order_21rocsparse_index_base_b
; %bb.0:
	s_clause 0x2
	s_load_b96 s[20:22], s[0:1], 0x80
	s_load_b64 s[2:3], s[0:1], 0x20
	s_load_b64 s[24:25], s[0:1], 0x60
	s_wait_kmcnt 0x0
	s_bitcmp1_b32 s22, 0
	s_cselect_b32 s4, -1, 0
	s_delay_alu instid0(SALU_CYCLE_1)
	s_and_b32 vcc_lo, exec_lo, s4
	s_xor_b32 s4, s4, -1
	s_cbranch_vccnz .LBB1_2
; %bb.1:
	s_load_b32 s2, s[2:3], 0x0
.LBB1_2:
	s_and_not1_b32 vcc_lo, exec_lo, s4
	s_cbranch_vccnz .LBB1_4
; %bb.3:
	s_load_b32 s24, s[24:25], 0x0
.LBB1_4:
	s_wait_kmcnt 0x0
	s_cmp_eq_f32 s2, 0
	s_cselect_b32 s3, -1, 0
	s_cmp_eq_f32 s24, 1.0
	s_cselect_b32 s4, -1, 0
	s_delay_alu instid0(SALU_CYCLE_1) | instskip(NEXT) | instid1(SALU_CYCLE_1)
	s_and_b32 s3, s3, s4
	s_and_b32 vcc_lo, exec_lo, s3
	s_cbranch_vccnz .LBB1_51
; %bb.5:
	s_clause 0x1
	s_load_b128 s[16:19], s[0:1], 0x0
	s_load_b64 s[4:5], s[0:1], 0x28
	s_bfe_u32 s3, ttmp6, 0x4000c
	s_and_b32 s6, ttmp6, 15
	s_add_co_i32 s3, s3, 1
	s_getreg_b32 s12, hwreg(HW_REG_IB_STS2, 6, 4)
	s_mul_i32 s3, ttmp9, s3
	s_mov_b64 s[22:23], 0
	s_add_co_i32 s6, s6, s3
	s_cmp_eq_u32 s12, 0
	s_mov_b64 s[26:27], 0
	s_cselect_b32 s28, ttmp9, s6
	s_wait_kmcnt 0x0
	s_cmp_lt_i32 s28, s18
	s_cselect_b32 s30, -1, 0
	s_cmp_ge_i32 s28, s18
	s_cbranch_scc0 .LBB1_8
; %bb.6:
	s_and_not1_b32 vcc_lo, exec_lo, s30
	s_cbranch_vccz .LBB1_9
.LBB1_7:
	s_load_b32 s3, s[0:1], 0x40
	s_wait_kmcnt 0x0
	s_cmp_lt_i32 s3, 1
	s_cbranch_scc0 .LBB1_10
	s_branch .LBB1_51
.LBB1_8:
	s_ashr_i32 s29, s28, 31
	s_mov_b32 s9, 0
	s_lshl_b64 s[6:7], s[28:29], 3
	s_mov_b32 s8, s21
	s_add_nc_u64 s[6:7], s[4:5], s[6:7]
	s_load_b64 s[6:7], s[6:7], 0x0
	s_wait_kmcnt 0x0
	s_sub_nc_u64 s[26:27], s[6:7], s[8:9]
	s_and_not1_b32 vcc_lo, exec_lo, s30
	s_cbranch_vccnz .LBB1_7
.LBB1_9:
	s_ashr_i32 s29, s28, 31
	s_delay_alu instid0(SALU_CYCLE_1) | instskip(NEXT) | instid1(SALU_CYCLE_1)
	s_lshl_b64 s[6:7], s[28:29], 3
	s_add_nc_u64 s[4:5], s[4:5], s[6:7]
	s_mov_b32 s7, 0
	s_load_b64 s[4:5], s[4:5], 0x8
	s_mov_b32 s6, s21
	s_wait_kmcnt 0x0
	s_sub_nc_u64 s[22:23], s[4:5], s[6:7]
	s_load_b32 s3, s[0:1], 0x40
	s_wait_kmcnt 0x0
	s_cmp_lt_i32 s3, 1
	s_cbranch_scc1 .LBB1_51
.LBB1_10:
	s_bitcmp1_b32 s16, 0
	s_load_b128 s[4:7], s[0:1], 0x68
	s_cselect_b32 s13, -1, 0
	s_bfe_u32 s14, ttmp6, 0x40010
	s_load_b128 s[8:11], s[0:1], 0x48
	s_add_co_i32 s14, s14, 1
	s_bfe_u32 s15, ttmp6, 0x40004
	s_mul_i32 s14, ttmp7, s14
	v_bfe_u32 v12, v0, 10, 10
	s_xor_b32 s16, s13, -1
	s_add_co_i32 s15, s15, s14
	s_cmp_eq_u32 s12, 0
	v_and_b32_e32 v13, 0x3ff, v0
	s_cselect_b32 s12, ttmp7, s15
	v_lshlrev_b32_e32 v15, 7, v12
	v_lshl_add_u32 v2, s12, 5, v12
	s_load_b128 s[12:15], s[0:1], 0x30
	s_cmp_lg_u32 s17, 0
	v_lshlrev_b32_e32 v14, 2, v13
	s_cselect_b32 s17, -1, 0
	v_ashrrev_i32_e32 v3, 31, v2
	s_wait_xcnt 0x0
	v_cmp_gt_i32_e64 s0, s19, v2
	v_cmp_lt_i64_e64 s25, s[26:27], s[22:23]
	v_or_b32_e32 v0, 0x1000, v14
	v_add_nc_u32_e32 v16, v14, v15
	s_wait_kmcnt 0x0
	v_mul_u64_e32 v[4:5], s[10:11], v[2:3]
	v_mul_u64_e32 v[6:7], s[6:7], v[2:3]
	v_lshlrev_b64_e32 v[2:3], 2, v[2:3]
	s_and_b32 s19, s30, s0
	s_cmp_neq_f32 s24, 0
	v_add_nc_u32_e32 v19, v0, v15
	v_add_nc_u32_e32 v17, 0x400, v14
	;; [unrolled: 1-line block ×4, first 2 shown]
	v_add_nc_u64_e32 v[0:1], s[8:9], v[2:3]
	v_add_nc_u64_e32 v[2:3], s[4:5], v[2:3]
	s_mov_b32 s29, 0
	s_cselect_b32 s30, -1, 0
	s_cmp_lg_u32 s20, 1
	s_mul_i32 s18, s3, s28
	s_mul_i32 s28, s3, s3
	s_cselect_b32 s20, -1, 0
	s_mov_b32 s31, s29
	v_lshl_add_u64 v[4:5], v[4:5], 2, s[8:9]
	v_lshl_add_u64 v[6:7], v[6:7], 2, s[4:5]
	s_branch .LBB1_12
.LBB1_11:                               ;   in Loop: Header=BB1_12 Depth=1
	s_wait_xcnt 0x0
	s_or_b32 exec_lo, exec_lo, s1
	s_add_co_i32 s31, s31, 32
	s_delay_alu instid0(SALU_CYCLE_1)
	s_cmp_lt_i32 s31, s3
	s_cbranch_scc0 .LBB1_51
.LBB1_12:                               ; =>This Loop Header: Depth=1
                                        ;     Child Loop BB1_15 Depth 2
                                        ;       Child Loop BB1_17 Depth 3
	v_dual_mov_b32 v21, 0 :: v_dual_add_nc_u32 v22, s31, v13
	s_and_not1_b32 vcc_lo, exec_lo, s25
	s_delay_alu instid0(VALU_DEP_1)
	v_cmp_gt_i32_e64 s1, s3, v22
	s_cbranch_vccnz .LBB1_39
; %bb.13:                               ;   in Loop: Header=BB1_12 Depth=1
	v_mul_lo_u32 v23, v22, s3
	v_mov_b32_e32 v21, 0
	s_mov_b64 s[4:5], s[26:27]
	s_branch .LBB1_15
.LBB1_14:                               ;   in Loop: Header=BB1_15 Depth=2
	s_add_nc_u64 s[4:5], s[4:5], 1
	s_delay_alu instid0(SALU_CYCLE_1)
	v_cmp_ge_i64_e64 s8, s[4:5], s[22:23]
	s_and_b32 vcc_lo, exec_lo, s8
	s_cbranch_vccnz .LBB1_39
.LBB1_15:                               ;   Parent Loop BB1_12 Depth=1
                                        ; =>  This Loop Header: Depth=2
                                        ;       Child Loop BB1_17 Depth 3
	s_lshl_b64 s[8:9], s[4:5], 2
	s_mov_b32 s33, 0
	s_add_nc_u64 s[8:9], s[12:13], s[8:9]
	s_load_b32 s8, s[8:9], 0x0
	s_wait_kmcnt 0x0
	s_wait_xcnt 0x0
	s_sub_co_i32 s8, s8, s21
	s_delay_alu instid0(SALU_CYCLE_1) | instskip(SKIP_1) | instid1(SALU_CYCLE_1)
	v_mad_u32 v24, s8, s3, v13
	s_mul_u64 s[8:9], s[4:5], s[28:29]
	s_lshl_b64 s[8:9], s[8:9], 2
	s_delay_alu instid0(SALU_CYCLE_1)
	s_add_nc_u64 s[8:9], s[14:15], s[8:9]
	s_branch .LBB1_17
.LBB1_16:                               ;   in Loop: Header=BB1_17 Depth=3
	s_wait_xcnt 0x0
	s_or_b32 exec_lo, exec_lo, s34
	s_wait_loadcnt 0x0
	ds_store_b32 v16, v9
	s_wait_dscnt 0x0
	s_barrier_signal -1
	s_barrier_wait -1
	ds_load_2addr_b32 v[30:31], v14 offset1:32
	ds_load_b128 v[8:11], v15 offset:4096
	ds_load_2addr_b32 v[32:33], v14 offset0:64 offset1:96
	ds_load_b128 v[26:29], v15 offset:4112
	ds_load_2addr_b32 v[34:35], v14 offset0:128 offset1:160
	s_add_co_i32 s33, s33, 32
	s_delay_alu instid0(SALU_CYCLE_1) | instskip(SKIP_2) | instid1(VALU_DEP_1)
	s_cmp_ge_i32 s33, s3
	s_wait_dscnt 0x3
	v_fmac_f32_e32 v21, v30, v8
	v_fmac_f32_e32 v21, v31, v9
	ds_load_2addr_b32 v[30:31], v14 offset0:192 offset1:224
	s_wait_dscnt 0x3
	v_fmac_f32_e32 v21, v32, v10
	s_delay_alu instid0(VALU_DEP_1) | instskip(SKIP_4) | instid1(VALU_DEP_1)
	v_fmac_f32_e32 v21, v33, v11
	ds_load_b128 v[8:11], v15 offset:4128
	ds_load_2addr_b32 v[32:33], v17 offset1:32
	s_wait_dscnt 0x3
	v_fmac_f32_e32 v21, v34, v26
	v_fmac_f32_e32 v21, v35, v27
	ds_load_2addr_b32 v[34:35], v17 offset0:64 offset1:96
	s_wait_dscnt 0x3
	v_fmac_f32_e32 v21, v30, v28
	s_delay_alu instid0(VALU_DEP_1) | instskip(SKIP_4) | instid1(VALU_DEP_1)
	v_fmac_f32_e32 v21, v31, v29
	ds_load_b128 v[26:29], v15 offset:4144
	ds_load_2addr_b32 v[30:31], v17 offset0:128 offset1:160
	s_wait_dscnt 0x3
	v_fmac_f32_e32 v21, v32, v8
	v_fmac_f32_e32 v21, v33, v9
	ds_load_2addr_b32 v[32:33], v17 offset0:192 offset1:224
	s_wait_dscnt 0x3
	v_fmac_f32_e32 v21, v34, v10
	s_delay_alu instid0(VALU_DEP_1) | instskip(SKIP_4) | instid1(VALU_DEP_1)
	v_fmac_f32_e32 v21, v35, v11
	ds_load_2addr_b32 v[34:35], v18 offset1:32
	ds_load_b128 v[8:11], v15 offset:4160
	s_wait_dscnt 0x3
	v_fmac_f32_e32 v21, v30, v26
	v_fmac_f32_e32 v21, v31, v27
	ds_load_2addr_b32 v[30:31], v18 offset0:64 offset1:96
	s_wait_dscnt 0x3
	v_fmac_f32_e32 v21, v32, v28
	s_delay_alu instid0(VALU_DEP_1) | instskip(SKIP_4) | instid1(VALU_DEP_1)
	v_fmac_f32_e32 v21, v33, v29
	ds_load_2addr_b32 v[32:33], v18 offset0:128 offset1:160
	ds_load_b128 v[26:29], v15 offset:4176
	s_wait_dscnt 0x3
	v_fmac_f32_e32 v21, v34, v8
	v_fmac_f32_e32 v21, v35, v9
	ds_load_2addr_b32 v[34:35], v18 offset0:192 offset1:224
	s_wait_dscnt 0x3
	v_fmac_f32_e32 v21, v30, v10
	s_delay_alu instid0(VALU_DEP_1) | instskip(SKIP_4) | instid1(VALU_DEP_1)
	v_fmac_f32_e32 v21, v31, v11
	ds_load_2addr_b32 v[30:31], v20 offset1:32
	ds_load_b128 v[8:11], v15 offset:4192
	s_wait_dscnt 0x3
	v_fmac_f32_e32 v21, v32, v26
	v_fmac_f32_e32 v21, v33, v27
	ds_load_2addr_b32 v[32:33], v20 offset0:64 offset1:96
	s_wait_dscnt 0x3
	v_fmac_f32_e32 v21, v34, v28
	s_delay_alu instid0(VALU_DEP_1) | instskip(SKIP_4) | instid1(VALU_DEP_1)
	v_fmac_f32_e32 v21, v35, v29
	ds_load_2addr_b32 v[34:35], v20 offset0:128 offset1:160
	ds_load_b128 v[26:29], v15 offset:4208
	s_wait_dscnt 0x3
	v_fmac_f32_e32 v21, v30, v8
	v_fmac_f32_e32 v21, v31, v9
	ds_load_2addr_b32 v[8:9], v20 offset0:192 offset1:224
	s_wait_dscnt 0x0
	s_barrier_signal -1
	s_barrier_wait -1
	v_fmac_f32_e32 v21, v32, v10
	s_delay_alu instid0(VALU_DEP_1) | instskip(NEXT) | instid1(VALU_DEP_1)
	v_fmac_f32_e32 v21, v33, v11
	v_fmac_f32_e32 v21, v34, v26
	s_delay_alu instid0(VALU_DEP_1) | instskip(NEXT) | instid1(VALU_DEP_1)
	v_fmac_f32_e32 v21, v35, v27
	v_fmac_f32_e32 v21, v8, v28
	s_delay_alu instid0(VALU_DEP_1)
	v_fmac_f32_e32 v21, v9, v29
	s_cbranch_scc1 .LBB1_14
.LBB1_17:                               ;   Parent Loop BB1_12 Depth=1
                                        ;     Parent Loop BB1_15 Depth=2
                                        ; =>    This Inner Loop Header: Depth=3
	s_and_b32 vcc_lo, exec_lo, s16
	s_mov_b32 s34, -1
                                        ; implicit-def: $vgpr8
	s_cbranch_vccnz .LBB1_26
; %bb.18:                               ;   in Loop: Header=BB1_17 Depth=3
	s_and_not1_b32 vcc_lo, exec_lo, s34
	s_cbranch_vccz .LBB1_31
.LBB1_19:                               ;   in Loop: Header=BB1_17 Depth=3
	s_and_b32 vcc_lo, exec_lo, s17
	s_wait_loadcnt 0x0
	ds_store_b32 v19, v8
	s_cbranch_vccz .LBB1_36
.LBB1_20:                               ;   in Loop: Header=BB1_17 Depth=3
	s_mov_b32 s34, 0
	s_mov_b32 s35, 0
                                        ; implicit-def: $vgpr8
	s_and_saveexec_b32 s36, s1
	s_cbranch_execz .LBB1_24
; %bb.21:                               ;   in Loop: Header=BB1_17 Depth=3
	v_add_nc_u32_e32 v9, s33, v12
	s_mov_b32 s37, exec_lo
                                        ; implicit-def: $vgpr8
	s_delay_alu instid0(VALU_DEP_1)
	v_cmpx_gt_i32_e64 s3, v9
	s_xor_b32 s37, exec_lo, s37
; %bb.22:                               ;   in Loop: Header=BB1_17 Depth=3
	s_mov_b32 s35, exec_lo
	v_mul_lo_u32 v8, v9, s3
; %bb.23:                               ;   in Loop: Header=BB1_17 Depth=3
	s_or_b32 exec_lo, exec_lo, s37
	s_delay_alu instid0(SALU_CYCLE_1)
	s_and_b32 s35, s35, exec_lo
.LBB1_24:                               ;   in Loop: Header=BB1_17 Depth=3
	s_or_b32 exec_lo, exec_lo, s36
	s_delay_alu instid0(SALU_CYCLE_1)
	s_and_b32 vcc_lo, exec_lo, s34
	s_cbranch_vccz .LBB1_37
.LBB1_25:                               ;   in Loop: Header=BB1_17 Depth=3
	v_dual_add_nc_u32 v8, s33, v12 :: v_dual_mov_b32 v10, v23
	s_and_not1_b32 s35, s35, exec_lo
	s_delay_alu instid0(VALU_DEP_1) | instskip(SKIP_1) | instid1(SALU_CYCLE_1)
	v_cmp_gt_i32_e32 vcc_lo, s3, v8
	s_and_b32 s34, s1, vcc_lo
	s_and_b32 s34, s34, exec_lo
	s_delay_alu instid0(SALU_CYCLE_1)
	s_or_b32 s35, s35, s34
	v_mov_b32_e32 v9, 0
	s_and_saveexec_b32 s34, s35
	s_cbranch_execz .LBB1_16
	s_branch .LBB1_38
.LBB1_26:                               ;   in Loop: Header=BB1_17 Depth=3
	v_mov_b32_e32 v8, 0
	s_and_saveexec_b32 s34, s0
	s_cbranch_execz .LBB1_30
; %bb.27:                               ;   in Loop: Header=BB1_17 Depth=3
	v_add_nc_u32_e32 v8, s33, v13
	s_delay_alu instid0(VALU_DEP_1)
	v_cmp_gt_i32_e32 vcc_lo, s3, v8
	v_mov_b32_e32 v8, 0
	s_and_saveexec_b32 s35, vcc_lo
	s_cbranch_execz .LBB1_29
; %bb.28:                               ;   in Loop: Header=BB1_17 Depth=3
	v_add_nc_u32_e32 v8, s33, v24
	s_delay_alu instid0(VALU_DEP_1) | instskip(NEXT) | instid1(VALU_DEP_1)
	v_ashrrev_i32_e32 v9, 31, v8
	v_mul_u64_e32 v[8:9], s[10:11], v[8:9]
	s_delay_alu instid0(VALU_DEP_1)
	v_lshl_add_u64 v[8:9], v[8:9], 2, v[0:1]
	global_load_b32 v8, v[8:9], off
.LBB1_29:                               ;   in Loop: Header=BB1_17 Depth=3
	s_wait_xcnt 0x0
	s_or_b32 exec_lo, exec_lo, s35
.LBB1_30:                               ;   in Loop: Header=BB1_17 Depth=3
	s_delay_alu instid0(SALU_CYCLE_1)
	s_or_b32 exec_lo, exec_lo, s34
	s_cbranch_execnz .LBB1_19
.LBB1_31:                               ;   in Loop: Header=BB1_17 Depth=3
	s_wait_loadcnt 0x0
	v_mov_b32_e32 v8, 0
	s_and_saveexec_b32 s34, s0
	s_cbranch_execz .LBB1_35
; %bb.32:                               ;   in Loop: Header=BB1_17 Depth=3
	v_add_nc_u32_e32 v8, s33, v13
	s_delay_alu instid0(VALU_DEP_1)
	v_cmp_gt_i32_e32 vcc_lo, s3, v8
	v_mov_b32_e32 v8, 0
	s_and_saveexec_b32 s35, vcc_lo
	s_cbranch_execz .LBB1_34
; %bb.33:                               ;   in Loop: Header=BB1_17 Depth=3
	v_add_nc_u32_e32 v8, s33, v24
	s_delay_alu instid0(VALU_DEP_1) | instskip(NEXT) | instid1(VALU_DEP_1)
	v_ashrrev_i32_e32 v9, 31, v8
	v_lshl_add_u64 v[8:9], v[8:9], 2, v[4:5]
	global_load_b32 v8, v[8:9], off
.LBB1_34:                               ;   in Loop: Header=BB1_17 Depth=3
	s_wait_xcnt 0x0
	s_or_b32 exec_lo, exec_lo, s35
.LBB1_35:                               ;   in Loop: Header=BB1_17 Depth=3
	s_delay_alu instid0(SALU_CYCLE_1) | instskip(NEXT) | instid1(SALU_CYCLE_1)
	s_or_b32 exec_lo, exec_lo, s34
	s_and_b32 vcc_lo, exec_lo, s17
	s_wait_loadcnt 0x0
	ds_store_b32 v19, v8
	s_cbranch_vccnz .LBB1_20
.LBB1_36:                               ;   in Loop: Header=BB1_17 Depth=3
	s_mov_b32 s35, 0
                                        ; implicit-def: $vgpr8
	s_cbranch_execnz .LBB1_25
.LBB1_37:                               ;   in Loop: Header=BB1_17 Depth=3
	v_dual_mov_b32 v10, v22 :: v_dual_mov_b32 v9, 0
	s_and_saveexec_b32 s34, s35
	s_cbranch_execz .LBB1_16
.LBB1_38:                               ;   in Loop: Header=BB1_17 Depth=3
	s_delay_alu instid0(VALU_DEP_1) | instskip(NEXT) | instid1(VALU_DEP_1)
	v_dual_ashrrev_i32 v11, 31, v10 :: v_dual_ashrrev_i32 v9, 31, v8
	v_lshl_add_u64 v[10:11], v[10:11], 2, s[8:9]
	s_delay_alu instid0(VALU_DEP_1)
	v_lshl_add_u64 v[8:9], v[8:9], 2, v[10:11]
	global_load_b32 v9, v[8:9], off
	s_branch .LBB1_16
.LBB1_39:                               ;   in Loop: Header=BB1_12 Depth=1
	v_cmp_gt_i32_e32 vcc_lo, s3, v22
	s_and_b32 s4, s19, vcc_lo
	s_delay_alu instid0(SALU_CYCLE_1)
	s_and_saveexec_b32 s1, s4
	s_cbranch_execz .LBB1_11
; %bb.40:                               ;   in Loop: Header=BB1_12 Depth=1
	v_add_nc_u32_e32 v8, s18, v22
	s_and_b32 vcc_lo, exec_lo, s30
	s_delay_alu instid0(VALU_DEP_1)
	v_ashrrev_i32_e32 v9, 31, v8
	s_cbranch_vccz .LBB1_46
; %bb.41:                               ;   in Loop: Header=BB1_12 Depth=1
	s_and_b32 vcc_lo, exec_lo, s20
	s_mov_b32 s4, -1
	s_cbranch_vccz .LBB1_43
; %bb.42:                               ;   in Loop: Header=BB1_12 Depth=1
	v_mul_u64_e32 v[10:11], s[6:7], v[8:9]
	v_mul_f32_e32 v23, s2, v21
	s_mov_b32 s4, 0
	s_delay_alu instid0(VALU_DEP_2)
	v_lshl_add_u64 v[10:11], v[10:11], 2, v[2:3]
	global_load_b32 v22, v[10:11], off
	s_wait_loadcnt 0x0
	v_fmac_f32_e32 v23, s24, v22
	global_store_b32 v[10:11], v23, off
.LBB1_43:                               ;   in Loop: Header=BB1_12 Depth=1
	s_and_not1_b32 vcc_lo, exec_lo, s4
	s_cbranch_vccnz .LBB1_45
; %bb.44:                               ;   in Loop: Header=BB1_12 Depth=1
	s_wait_xcnt 0x0
	v_lshl_add_u64 v[10:11], v[8:9], 2, v[6:7]
	v_mul_f32_e32 v23, s2, v21
	global_load_b32 v22, v[10:11], off
	s_wait_loadcnt 0x0
	v_fmac_f32_e32 v23, s24, v22
	global_store_b32 v[10:11], v23, off
.LBB1_45:                               ;   in Loop: Header=BB1_12 Depth=1
	s_cbranch_execnz .LBB1_11
	s_branch .LBB1_47
.LBB1_46:                               ;   in Loop: Header=BB1_12 Depth=1
.LBB1_47:                               ;   in Loop: Header=BB1_12 Depth=1
	s_wait_xcnt 0x0
	v_mul_f32_e32 v10, s2, v21
	s_and_b32 vcc_lo, exec_lo, s20
	s_mov_b32 s4, -1
	s_cbranch_vccz .LBB1_49
; %bb.48:                               ;   in Loop: Header=BB1_12 Depth=1
	v_mul_u64_e32 v[22:23], s[6:7], v[8:9]
	s_mov_b32 s4, 0
	s_delay_alu instid0(VALU_DEP_1)
	v_lshl_add_u64 v[22:23], v[22:23], 2, v[2:3]
	global_store_b32 v[22:23], v10, off
.LBB1_49:                               ;   in Loop: Header=BB1_12 Depth=1
	s_and_not1_b32 vcc_lo, exec_lo, s4
	s_cbranch_vccnz .LBB1_11
; %bb.50:                               ;   in Loop: Header=BB1_12 Depth=1
	v_lshl_add_u64 v[8:9], v[8:9], 2, v[6:7]
	global_store_b32 v[8:9], v10, off
	s_branch .LBB1_11
.LBB1_51:
	s_endpgm
	.section	.rodata,"a",@progbits
	.p2align	6, 0x0
	.amdhsa_kernel _ZN9rocsparseL29bsrmm_general_blockdim_kernelILj32ELj32EliffffEEvb20rocsparse_direction_T2_S2_llNS_24const_host_device_scalarIT6_EEPKT1_PKS2_PKT3_S2_PKT4_llS5_PT5_ll16rocsparse_order_21rocsparse_index_base_b
		.amdhsa_group_segment_fixed_size 8192
		.amdhsa_private_segment_fixed_size 0
		.amdhsa_kernarg_size 140
		.amdhsa_user_sgpr_count 2
		.amdhsa_user_sgpr_dispatch_ptr 0
		.amdhsa_user_sgpr_queue_ptr 0
		.amdhsa_user_sgpr_kernarg_segment_ptr 1
		.amdhsa_user_sgpr_dispatch_id 0
		.amdhsa_user_sgpr_kernarg_preload_length 0
		.amdhsa_user_sgpr_kernarg_preload_offset 0
		.amdhsa_user_sgpr_private_segment_size 0
		.amdhsa_wavefront_size32 1
		.amdhsa_uses_dynamic_stack 0
		.amdhsa_enable_private_segment 0
		.amdhsa_system_sgpr_workgroup_id_x 1
		.amdhsa_system_sgpr_workgroup_id_y 1
		.amdhsa_system_sgpr_workgroup_id_z 0
		.amdhsa_system_sgpr_workgroup_info 0
		.amdhsa_system_vgpr_workitem_id 1
		.amdhsa_next_free_vgpr 36
		.amdhsa_next_free_sgpr 38
		.amdhsa_named_barrier_count 0
		.amdhsa_reserve_vcc 1
		.amdhsa_float_round_mode_32 0
		.amdhsa_float_round_mode_16_64 0
		.amdhsa_float_denorm_mode_32 3
		.amdhsa_float_denorm_mode_16_64 3
		.amdhsa_fp16_overflow 0
		.amdhsa_memory_ordered 1
		.amdhsa_forward_progress 1
		.amdhsa_inst_pref_size 16
		.amdhsa_round_robin_scheduling 0
		.amdhsa_exception_fp_ieee_invalid_op 0
		.amdhsa_exception_fp_denorm_src 0
		.amdhsa_exception_fp_ieee_div_zero 0
		.amdhsa_exception_fp_ieee_overflow 0
		.amdhsa_exception_fp_ieee_underflow 0
		.amdhsa_exception_fp_ieee_inexact 0
		.amdhsa_exception_int_div_zero 0
	.end_amdhsa_kernel
	.section	.text._ZN9rocsparseL29bsrmm_general_blockdim_kernelILj32ELj32EliffffEEvb20rocsparse_direction_T2_S2_llNS_24const_host_device_scalarIT6_EEPKT1_PKS2_PKT3_S2_PKT4_llS5_PT5_ll16rocsparse_order_21rocsparse_index_base_b,"axG",@progbits,_ZN9rocsparseL29bsrmm_general_blockdim_kernelILj32ELj32EliffffEEvb20rocsparse_direction_T2_S2_llNS_24const_host_device_scalarIT6_EEPKT1_PKS2_PKT3_S2_PKT4_llS5_PT5_ll16rocsparse_order_21rocsparse_index_base_b,comdat
.Lfunc_end1:
	.size	_ZN9rocsparseL29bsrmm_general_blockdim_kernelILj32ELj32EliffffEEvb20rocsparse_direction_T2_S2_llNS_24const_host_device_scalarIT6_EEPKT1_PKS2_PKT3_S2_PKT4_llS5_PT5_ll16rocsparse_order_21rocsparse_index_base_b, .Lfunc_end1-_ZN9rocsparseL29bsrmm_general_blockdim_kernelILj32ELj32EliffffEEvb20rocsparse_direction_T2_S2_llNS_24const_host_device_scalarIT6_EEPKT1_PKS2_PKT3_S2_PKT4_llS5_PT5_ll16rocsparse_order_21rocsparse_index_base_b
                                        ; -- End function
	.set _ZN9rocsparseL29bsrmm_general_blockdim_kernelILj32ELj32EliffffEEvb20rocsparse_direction_T2_S2_llNS_24const_host_device_scalarIT6_EEPKT1_PKS2_PKT3_S2_PKT4_llS5_PT5_ll16rocsparse_order_21rocsparse_index_base_b.num_vgpr, 36
	.set _ZN9rocsparseL29bsrmm_general_blockdim_kernelILj32ELj32EliffffEEvb20rocsparse_direction_T2_S2_llNS_24const_host_device_scalarIT6_EEPKT1_PKS2_PKT3_S2_PKT4_llS5_PT5_ll16rocsparse_order_21rocsparse_index_base_b.num_agpr, 0
	.set _ZN9rocsparseL29bsrmm_general_blockdim_kernelILj32ELj32EliffffEEvb20rocsparse_direction_T2_S2_llNS_24const_host_device_scalarIT6_EEPKT1_PKS2_PKT3_S2_PKT4_llS5_PT5_ll16rocsparse_order_21rocsparse_index_base_b.numbered_sgpr, 38
	.set _ZN9rocsparseL29bsrmm_general_blockdim_kernelILj32ELj32EliffffEEvb20rocsparse_direction_T2_S2_llNS_24const_host_device_scalarIT6_EEPKT1_PKS2_PKT3_S2_PKT4_llS5_PT5_ll16rocsparse_order_21rocsparse_index_base_b.num_named_barrier, 0
	.set _ZN9rocsparseL29bsrmm_general_blockdim_kernelILj32ELj32EliffffEEvb20rocsparse_direction_T2_S2_llNS_24const_host_device_scalarIT6_EEPKT1_PKS2_PKT3_S2_PKT4_llS5_PT5_ll16rocsparse_order_21rocsparse_index_base_b.private_seg_size, 0
	.set _ZN9rocsparseL29bsrmm_general_blockdim_kernelILj32ELj32EliffffEEvb20rocsparse_direction_T2_S2_llNS_24const_host_device_scalarIT6_EEPKT1_PKS2_PKT3_S2_PKT4_llS5_PT5_ll16rocsparse_order_21rocsparse_index_base_b.uses_vcc, 1
	.set _ZN9rocsparseL29bsrmm_general_blockdim_kernelILj32ELj32EliffffEEvb20rocsparse_direction_T2_S2_llNS_24const_host_device_scalarIT6_EEPKT1_PKS2_PKT3_S2_PKT4_llS5_PT5_ll16rocsparse_order_21rocsparse_index_base_b.uses_flat_scratch, 0
	.set _ZN9rocsparseL29bsrmm_general_blockdim_kernelILj32ELj32EliffffEEvb20rocsparse_direction_T2_S2_llNS_24const_host_device_scalarIT6_EEPKT1_PKS2_PKT3_S2_PKT4_llS5_PT5_ll16rocsparse_order_21rocsparse_index_base_b.has_dyn_sized_stack, 0
	.set _ZN9rocsparseL29bsrmm_general_blockdim_kernelILj32ELj32EliffffEEvb20rocsparse_direction_T2_S2_llNS_24const_host_device_scalarIT6_EEPKT1_PKS2_PKT3_S2_PKT4_llS5_PT5_ll16rocsparse_order_21rocsparse_index_base_b.has_recursion, 0
	.set _ZN9rocsparseL29bsrmm_general_blockdim_kernelILj32ELj32EliffffEEvb20rocsparse_direction_T2_S2_llNS_24const_host_device_scalarIT6_EEPKT1_PKS2_PKT3_S2_PKT4_llS5_PT5_ll16rocsparse_order_21rocsparse_index_base_b.has_indirect_call, 0
	.section	.AMDGPU.csdata,"",@progbits
; Kernel info:
; codeLenInByte = 1936
; TotalNumSgprs: 40
; NumVgprs: 36
; ScratchSize: 0
; MemoryBound: 0
; FloatMode: 240
; IeeeMode: 1
; LDSByteSize: 8192 bytes/workgroup (compile time only)
; SGPRBlocks: 0
; VGPRBlocks: 2
; NumSGPRsForWavesPerEU: 40
; NumVGPRsForWavesPerEU: 36
; NamedBarCnt: 0
; Occupancy: 16
; WaveLimiterHint : 1
; COMPUTE_PGM_RSRC2:SCRATCH_EN: 0
; COMPUTE_PGM_RSRC2:USER_SGPR: 2
; COMPUTE_PGM_RSRC2:TRAP_HANDLER: 0
; COMPUTE_PGM_RSRC2:TGID_X_EN: 1
; COMPUTE_PGM_RSRC2:TGID_Y_EN: 1
; COMPUTE_PGM_RSRC2:TGID_Z_EN: 0
; COMPUTE_PGM_RSRC2:TIDIG_COMP_CNT: 1
	.section	.text._ZN9rocsparseL29bsrmm_general_blockdim_kernelILj32ELj32EllffffEEvb20rocsparse_direction_T2_S2_llNS_24const_host_device_scalarIT6_EEPKT1_PKS2_PKT3_S2_PKT4_llS5_PT5_ll16rocsparse_order_21rocsparse_index_base_b,"axG",@progbits,_ZN9rocsparseL29bsrmm_general_blockdim_kernelILj32ELj32EllffffEEvb20rocsparse_direction_T2_S2_llNS_24const_host_device_scalarIT6_EEPKT1_PKS2_PKT3_S2_PKT4_llS5_PT5_ll16rocsparse_order_21rocsparse_index_base_b,comdat
	.globl	_ZN9rocsparseL29bsrmm_general_blockdim_kernelILj32ELj32EllffffEEvb20rocsparse_direction_T2_S2_llNS_24const_host_device_scalarIT6_EEPKT1_PKS2_PKT3_S2_PKT4_llS5_PT5_ll16rocsparse_order_21rocsparse_index_base_b ; -- Begin function _ZN9rocsparseL29bsrmm_general_blockdim_kernelILj32ELj32EllffffEEvb20rocsparse_direction_T2_S2_llNS_24const_host_device_scalarIT6_EEPKT1_PKS2_PKT3_S2_PKT4_llS5_PT5_ll16rocsparse_order_21rocsparse_index_base_b
	.p2align	8
	.type	_ZN9rocsparseL29bsrmm_general_blockdim_kernelILj32ELj32EllffffEEvb20rocsparse_direction_T2_S2_llNS_24const_host_device_scalarIT6_EEPKT1_PKS2_PKT3_S2_PKT4_llS5_PT5_ll16rocsparse_order_21rocsparse_index_base_b,@function
_ZN9rocsparseL29bsrmm_general_blockdim_kernelILj32ELj32EllffffEEvb20rocsparse_direction_T2_S2_llNS_24const_host_device_scalarIT6_EEPKT1_PKS2_PKT3_S2_PKT4_llS5_PT5_ll16rocsparse_order_21rocsparse_index_base_b: ; @_ZN9rocsparseL29bsrmm_general_blockdim_kernelILj32ELj32EllffffEEvb20rocsparse_direction_T2_S2_llNS_24const_host_device_scalarIT6_EEPKT1_PKS2_PKT3_S2_PKT4_llS5_PT5_ll16rocsparse_order_21rocsparse_index_base_b
; %bb.0:
	s_clause 0x2
	s_load_b96 s[16:18], s[0:1], 0x88
	s_load_b64 s[20:21], s[0:1], 0x28
	s_load_b64 s[22:23], s[0:1], 0x68
	s_wait_kmcnt 0x0
	s_bitcmp1_b32 s18, 0
	s_cselect_b32 s2, -1, 0
	s_delay_alu instid0(SALU_CYCLE_1)
	s_and_b32 vcc_lo, exec_lo, s2
	s_xor_b32 s2, s2, -1
	s_cbranch_vccnz .LBB2_2
; %bb.1:
	s_load_b32 s20, s[20:21], 0x0
.LBB2_2:
	s_and_not1_b32 vcc_lo, exec_lo, s2
	s_cbranch_vccnz .LBB2_4
; %bb.3:
	s_load_b32 s22, s[22:23], 0x0
.LBB2_4:
	s_wait_kmcnt 0x0
	s_cmp_eq_f32 s20, 0
	s_cselect_b32 s2, -1, 0
	s_cmp_eq_f32 s22, 1.0
	s_cselect_b32 s3, -1, 0
	s_delay_alu instid0(SALU_CYCLE_1) | instskip(NEXT) | instid1(SALU_CYCLE_1)
	s_and_b32 s2, s2, s3
	s_and_b32 vcc_lo, exec_lo, s2
	s_cbranch_vccnz .LBB2_53
; %bb.5:
	s_clause 0x1
	s_load_b128 s[8:11], s[0:1], 0x8
	s_load_b64 s[2:3], s[0:1], 0x30
	s_bfe_u32 s4, ttmp6, 0x4000c
	s_and_b32 s5, ttmp6, 15
	s_add_co_i32 s4, s4, 1
	s_getreg_b32 s21, hwreg(HW_REG_IB_STS2, 6, 4)
	s_mul_i32 s4, ttmp9, s4
	s_mov_b64 s[18:19], 0
	s_add_co_i32 s5, s5, s4
	s_cmp_eq_u32 s21, 0
	s_mov_b64 s[24:25], 0
	s_cselect_b32 s28, ttmp9, s5
	s_delay_alu instid0(SALU_CYCLE_1)
	s_ashr_i32 s29, s28, 31
	s_wait_kmcnt 0x0
	v_cmp_le_i64_e64 s4, s[8:9], s[28:29]
	v_cmp_gt_i64_e64 s8, s[8:9], s[28:29]
	s_and_b32 vcc_lo, exec_lo, s4
	s_cbranch_vccz .LBB2_8
; %bb.6:
	s_and_not1_b32 vcc_lo, exec_lo, s8
	s_cbranch_vccz .LBB2_9
.LBB2_7:
	s_load_b64 s[26:27], s[0:1], 0x48
	s_wait_kmcnt 0x0
	v_cmp_lt_i64_e64 s2, s[26:27], 1
	s_and_b32 vcc_lo, exec_lo, s2
	s_cbranch_vccz .LBB2_10
	s_branch .LBB2_53
.LBB2_8:
	s_lshl_b64 s[4:5], s[28:29], 3
	s_mov_b32 s7, 0
	s_add_nc_u64 s[4:5], s[2:3], s[4:5]
	s_mov_b32 s6, s17
	s_load_b64 s[4:5], s[4:5], 0x0
	s_wait_kmcnt 0x0
	s_sub_nc_u64 s[24:25], s[4:5], s[6:7]
	s_and_not1_b32 vcc_lo, exec_lo, s8
	s_cbranch_vccnz .LBB2_7
.LBB2_9:
	s_lshl_b64 s[4:5], s[28:29], 3
	s_delay_alu instid0(SALU_CYCLE_1)
	s_add_nc_u64 s[2:3], s[2:3], s[4:5]
	s_mov_b32 s5, 0
	s_load_b64 s[2:3], s[2:3], 0x8
	s_mov_b32 s4, s17
	s_wait_kmcnt 0x0
	s_sub_nc_u64 s[18:19], s[2:3], s[4:5]
	s_load_b64 s[26:27], s[0:1], 0x48
	s_wait_kmcnt 0x0
	v_cmp_lt_i64_e64 s2, s[26:27], 1
	s_and_b32 vcc_lo, exec_lo, s2
	s_cbranch_vccnz .LBB2_53
.LBB2_10:
	s_load_b64 s[30:31], s[0:1], 0x0
	s_bfe_u32 s2, ttmp6, 0x40010
	s_bfe_u32 s3, ttmp6, 0x40004
	s_add_co_i32 s2, s2, 1
	v_bfe_u32 v2, v0, 10, 10
	s_mul_i32 s2, ttmp7, s2
	s_clause 0x1
	s_load_b128 s[4:7], s[0:1], 0x70
	s_load_b128 s[12:15], s[0:1], 0x50
	s_add_co_i32 s3, s3, s2
	s_cmp_eq_u32 s21, 0
	v_and_b32_e32 v0, 0x3ff, v0
	s_cselect_b32 s2, ttmp7, s3
	v_mov_b32_e32 v7, 0
	v_lshl_add_u32 v6, s2, 5, v2
	s_mov_b64 s[34:35], 0xffffffff
	v_lshlrev_b32_e32 v4, 2, v0
	s_mul_u64 s[36:37], s[24:25], s[26:27]
	v_mov_b32_e32 v5, v7
	v_cmp_gt_i64_e64 s2, s[10:11], v[6:7]
	v_lshlrev_b64_e32 v[8:9], 2, v[6:7]
	v_dual_mov_b32 v1, v7 :: v_dual_lshlrev_b32 v32, 7, v2
	s_wait_kmcnt 0x0
	s_bitcmp1_b32 s30, 0
	v_mov_b32_e32 v3, v7
	s_cselect_b32 s3, -1, 0
	s_and_b64 s[34:35], s[28:29], s[34:35]
	s_xor_b32 s3, s3, -1
	s_cmp_lg_u32 s31, 0
	v_mul_u64_e32 v[10:11], s[6:7], v[6:7]
	s_cselect_b32 s21, -1, 0
	s_and_b32 s23, s8, s2
	s_cmp_neq_f32 s22, 0
	v_mul_u64_e32 v[12:13], s[14:15], v[6:7]
	v_dual_lshlrev_b32 v6, 2, v2 :: v_dual_add_nc_u32 v33, v4, v32
	s_cselect_b32 s33, -1, 0
	s_cmp_lg_u32 s16, 1
	v_add_nc_u32_e32 v35, 0x800, v4
	s_cselect_b32 s40, -1, 0
	s_lshl_b64 s[8:9], s[36:37], 2
	v_add_nc_u32_e32 v36, 0xc00, v4
	v_add_nc_u64_e32 v[14:15], s[8:9], v[4:5]
	v_add_nc_u64_e32 v[16:17], s[8:9], v[6:7]
	s_load_b128 s[8:11], s[0:1], 0x38
	s_wait_xcnt 0x0
	v_cmp_lt_i64_e64 s1, s[24:25], s[18:19]
	s_mul_u64 s[36:37], s[26:27], s[26:27]
	s_mov_b32 s29, 0
	s_mov_b32 s28, s17
	v_mad_nc_u64_u32 v[18:19], s26, v14, v[6:7]
	v_mad_nc_u64_u32 v[20:21], s26, v16, v[4:5]
	s_mul_u64 s[16:17], s[26:27], s[34:35]
	s_lshl_b64 s[30:31], s[26:27], 2
	s_lshl_b64 s[34:35], s[14:15], 2
	;; [unrolled: 1-line block ×3, first 2 shown]
	s_delay_alu instid0(VALU_DEP_2) | instskip(NEXT) | instid1(VALU_DEP_2)
	v_mad_u32 v6, s27, v14, v19
	v_mad_u32 v14, s27, v16, v21
	v_or_b32_e32 v16, 0x1000, v4
	v_lshl_add_u64 v[10:11], v[10:11], 2, s[4:5]
	v_lshl_add_u64 v[12:13], v[12:13], 2, v[4:5]
	v_add_nc_u32_e32 v5, 0x400, v4
	s_delay_alu instid0(VALU_DEP_4) | instskip(NEXT) | instid1(VALU_DEP_3)
	v_add_nc_u32_e32 v34, v16, v32
	v_add_nc_u64_e32 v[12:13], s[12:13], v[12:13]
	v_mad_u32 v19, s26, v15, v6
	v_mad_u32 v21, s26, v17, v14
	v_add_nc_u64_e32 v[6:7], s[4:5], v[8:9]
	v_add_nc_u64_e32 v[8:9], s[12:13], v[8:9]
	s_lshl_b64 s[4:5], s[26:27], 7
	s_mov_b64 s[12:13], 0
	s_wait_kmcnt 0x0
	s_delay_alu instid0(VALU_DEP_4) | instskip(NEXT) | instid1(VALU_DEP_4)
	v_add_nc_u64_e32 v[14:15], s[10:11], v[18:19]
	v_add_nc_u64_e32 v[16:17], s[10:11], v[20:21]
	s_lshl_b64 s[10:11], s[36:37], 2
	s_branch .LBB2_12
.LBB2_11:                               ;   in Loop: Header=BB2_12 Depth=1
	s_wait_xcnt 0x0
	s_or_b32 exec_lo, exec_lo, s0
	s_add_nc_u64 s[12:13], s[12:13], 32
	v_add_nc_u64_e32 v[14:15], s[4:5], v[14:15]
	v_cmp_lt_i64_e64 s0, s[12:13], s[26:27]
	v_add_nc_u64_e32 v[16:17], 0x80, v[16:17]
	s_and_b32 vcc_lo, exec_lo, s0
	s_cbranch_vccz .LBB2_53
.LBB2_12:                               ; =>This Loop Header: Depth=1
                                        ;     Child Loop BB2_15 Depth 2
                                        ;       Child Loop BB2_19 Depth 3
	v_add_nc_u64_e32 v[18:19], s[12:13], v[0:1]
	v_mov_b32_e32 v37, 0
	s_and_not1_b32 vcc_lo, exec_lo, s1
	s_delay_alu instid0(VALU_DEP_2)
	v_cmp_gt_i64_e64 s0, s[26:27], v[18:19]
	s_cbranch_vccnz .LBB2_41
; %bb.13:                               ;   in Loop: Header=BB2_12 Depth=1
	v_mov_b64_e32 v[20:21], v[16:17]
	v_mov_b64_e32 v[22:23], v[14:15]
	v_mov_b32_e32 v37, 0
	s_mov_b64 s[36:37], s[24:25]
	s_branch .LBB2_15
.LBB2_14:                               ;   in Loop: Header=BB2_15 Depth=2
	s_add_nc_u64 s[36:37], s[36:37], 1
	v_add_nc_u64_e32 v[22:23], s[10:11], v[22:23]
	v_cmp_ge_i64_e64 s38, s[36:37], s[18:19]
	v_add_nc_u64_e32 v[20:21], s[10:11], v[20:21]
	s_and_b32 vcc_lo, exec_lo, s38
	s_cbranch_vccnz .LBB2_41
.LBB2_15:                               ;   Parent Loop BB2_12 Depth=1
                                        ; =>  This Loop Header: Depth=2
                                        ;       Child Loop BB2_19 Depth 3
	s_lshl_b64 s[38:39], s[36:37], 3
	s_delay_alu instid0(VALU_DEP_2)
	v_mov_b64_e32 v[30:31], v[22:23]
	s_add_nc_u64 s[38:39], s[8:9], s[38:39]
	s_load_b64 s[38:39], s[38:39], 0x0
	s_wait_kmcnt 0x0
	s_wait_xcnt 0x0
	s_sub_nc_u64 s[38:39], s[38:39], s[28:29]
	s_delay_alu instid0(SALU_CYCLE_1)
	v_mad_nc_u64_u32 v[28:29], s38, s26, v[0:1]
	s_mul_i32 s41, s39, s26
	s_mul_i32 s42, s38, s27
	v_mad_nc_u64_u32 v[26:27], s30, s38, v[12:13]
	s_mul_i32 s38, s31, s38
	s_mul_i32 s39, s30, s39
	s_delay_alu instid0(VALU_DEP_2) | instskip(NEXT) | instid1(VALU_DEP_2)
	v_mad_nc_u64_u32 v[24:25], s34, v28, v[8:9]
	v_add3_u32 v27, s39, s38, v27
	s_mov_b64 s[38:39], 0
	s_delay_alu instid0(VALU_DEP_2) | instskip(SKIP_1) | instid1(VALU_DEP_1)
	v_mad_u32 v25, s35, v28, v25
	v_add3_u32 v28, s42, s41, v29
	v_mad_u32 v25, s34, v28, v25
	v_mov_b64_e32 v[28:29], v[20:21]
	s_branch .LBB2_19
.LBB2_16:                               ;   in Loop: Header=BB2_19 Depth=3
	s_wait_xcnt 0x0
	s_or_b32 exec_lo, exec_lo, s42
.LBB2_17:                               ;   in Loop: Header=BB2_19 Depth=3
	s_delay_alu instid0(SALU_CYCLE_1)
	s_or_b32 exec_lo, exec_lo, s41
.LBB2_18:                               ;   in Loop: Header=BB2_19 Depth=3
	s_wait_loadcnt 0x0
	ds_store_b32 v33, v38
	s_wait_dscnt 0x0
	s_barrier_signal -1
	s_barrier_wait -1
	ds_load_2addr_b32 v[46:47], v4 offset1:32
	ds_load_b128 v[38:41], v32 offset:4096
	ds_load_2addr_b32 v[48:49], v4 offset0:64 offset1:96
	ds_load_b128 v[42:45], v32 offset:4112
	ds_load_2addr_b32 v[50:51], v4 offset0:128 offset1:160
	s_add_nc_u64 s[38:39], s[38:39], 32
	v_add_nc_u64_e32 v[26:27], 0x80, v[26:27]
	v_cmp_ge_i64_e64 s41, s[38:39], s[26:27]
	v_add_nc_u64_e32 v[24:25], s[14:15], v[24:25]
	v_add_nc_u64_e32 v[30:31], 0x80, v[30:31]
	;; [unrolled: 1-line block ×3, first 2 shown]
	s_and_b32 vcc_lo, exec_lo, s41
	s_wait_dscnt 0x3
	v_fmac_f32_e32 v37, v46, v38
	s_delay_alu instid0(VALU_DEP_1) | instskip(SKIP_3) | instid1(VALU_DEP_1)
	v_fmac_f32_e32 v37, v47, v39
	ds_load_2addr_b32 v[46:47], v4 offset0:192 offset1:224
	s_wait_dscnt 0x3
	v_fmac_f32_e32 v37, v48, v40
	v_fmac_f32_e32 v37, v49, v41
	ds_load_b128 v[38:41], v32 offset:4128
	ds_load_2addr_b32 v[48:49], v5 offset1:32
	s_wait_dscnt 0x3
	v_fmac_f32_e32 v37, v50, v42
	s_delay_alu instid0(VALU_DEP_1) | instskip(SKIP_3) | instid1(VALU_DEP_1)
	v_fmac_f32_e32 v37, v51, v43
	ds_load_2addr_b32 v[50:51], v5 offset0:64 offset1:96
	s_wait_dscnt 0x3
	v_fmac_f32_e32 v37, v46, v44
	v_fmac_f32_e32 v37, v47, v45
	ds_load_b128 v[42:45], v32 offset:4144
	ds_load_2addr_b32 v[46:47], v5 offset0:128 offset1:160
	s_wait_dscnt 0x3
	v_fmac_f32_e32 v37, v48, v38
	s_delay_alu instid0(VALU_DEP_1) | instskip(SKIP_3) | instid1(VALU_DEP_1)
	v_fmac_f32_e32 v37, v49, v39
	ds_load_2addr_b32 v[48:49], v5 offset0:192 offset1:224
	s_wait_dscnt 0x3
	v_fmac_f32_e32 v37, v50, v40
	v_fmac_f32_e32 v37, v51, v41
	ds_load_2addr_b32 v[50:51], v35 offset1:32
	ds_load_b128 v[38:41], v32 offset:4160
	s_wait_dscnt 0x3
	v_fmac_f32_e32 v37, v46, v42
	s_delay_alu instid0(VALU_DEP_1) | instskip(SKIP_3) | instid1(VALU_DEP_1)
	v_fmac_f32_e32 v37, v47, v43
	ds_load_2addr_b32 v[46:47], v35 offset0:64 offset1:96
	s_wait_dscnt 0x3
	v_fmac_f32_e32 v37, v48, v44
	v_fmac_f32_e32 v37, v49, v45
	ds_load_2addr_b32 v[48:49], v35 offset0:128 offset1:160
	ds_load_b128 v[42:45], v32 offset:4176
	s_wait_dscnt 0x3
	v_fmac_f32_e32 v37, v50, v38
	s_delay_alu instid0(VALU_DEP_1) | instskip(SKIP_3) | instid1(VALU_DEP_1)
	v_fmac_f32_e32 v37, v51, v39
	ds_load_2addr_b32 v[50:51], v35 offset0:192 offset1:224
	s_wait_dscnt 0x3
	v_fmac_f32_e32 v37, v46, v40
	v_fmac_f32_e32 v37, v47, v41
	ds_load_2addr_b32 v[46:47], v36 offset1:32
	ds_load_b128 v[38:41], v32 offset:4192
	s_wait_dscnt 0x3
	v_fmac_f32_e32 v37, v48, v42
	s_delay_alu instid0(VALU_DEP_1) | instskip(SKIP_3) | instid1(VALU_DEP_1)
	v_fmac_f32_e32 v37, v49, v43
	ds_load_2addr_b32 v[48:49], v36 offset0:64 offset1:96
	s_wait_dscnt 0x3
	v_fmac_f32_e32 v37, v50, v44
	v_fmac_f32_e32 v37, v51, v45
	ds_load_2addr_b32 v[50:51], v36 offset0:128 offset1:160
	ds_load_b128 v[42:45], v32 offset:4208
	s_wait_dscnt 0x3
	v_fmac_f32_e32 v37, v46, v38
	s_delay_alu instid0(VALU_DEP_1)
	v_fmac_f32_e32 v37, v47, v39
	ds_load_2addr_b32 v[38:39], v36 offset0:192 offset1:224
	s_wait_dscnt 0x0
	s_barrier_signal -1
	s_barrier_wait -1
	v_fmac_f32_e32 v37, v48, v40
	s_delay_alu instid0(VALU_DEP_1) | instskip(NEXT) | instid1(VALU_DEP_1)
	v_fmac_f32_e32 v37, v49, v41
	v_fmac_f32_e32 v37, v50, v42
	s_delay_alu instid0(VALU_DEP_1) | instskip(NEXT) | instid1(VALU_DEP_1)
	v_fmac_f32_e32 v37, v51, v43
	v_fmac_f32_e32 v37, v38, v44
	s_delay_alu instid0(VALU_DEP_1)
	v_fmac_f32_e32 v37, v39, v45
	s_cbranch_vccnz .LBB2_14
.LBB2_19:                               ;   Parent Loop BB2_12 Depth=1
                                        ;     Parent Loop BB2_15 Depth=2
                                        ; =>    This Inner Loop Header: Depth=3
	s_and_b32 vcc_lo, exec_lo, s3
	s_mov_b32 s41, -1
                                        ; implicit-def: $vgpr38
	s_cbranch_vccnz .LBB2_27
; %bb.20:                               ;   in Loop: Header=BB2_19 Depth=3
	s_and_not1_b32 vcc_lo, exec_lo, s41
	s_cbranch_vccz .LBB2_32
.LBB2_21:                               ;   in Loop: Header=BB2_19 Depth=3
	s_and_b32 vcc_lo, exec_lo, s21
	s_wait_loadcnt 0x0
	ds_store_b32 v34, v38
	s_cbranch_vccz .LBB2_37
.LBB2_22:                               ;   in Loop: Header=BB2_19 Depth=3
	v_mov_b32_e32 v38, 0
	s_and_saveexec_b32 s41, s0
	s_cbranch_execz .LBB2_26
; %bb.23:                               ;   in Loop: Header=BB2_19 Depth=3
	v_add_nc_u64_e32 v[38:39], s[38:39], v[2:3]
	s_delay_alu instid0(VALU_DEP_1)
	v_cmp_gt_i64_e32 vcc_lo, s[26:27], v[38:39]
	v_mov_b32_e32 v38, 0
	s_and_saveexec_b32 s42, vcc_lo
	s_cbranch_execz .LBB2_25
; %bb.24:                               ;   in Loop: Header=BB2_19 Depth=3
	global_load_b32 v38, v[28:29], off
.LBB2_25:                               ;   in Loop: Header=BB2_19 Depth=3
	s_wait_xcnt 0x0
	s_or_b32 exec_lo, exec_lo, s42
.LBB2_26:                               ;   in Loop: Header=BB2_19 Depth=3
	s_delay_alu instid0(SALU_CYCLE_1)
	s_or_b32 exec_lo, exec_lo, s41
	s_cbranch_execnz .LBB2_18
	s_branch .LBB2_38
.LBB2_27:                               ;   in Loop: Header=BB2_19 Depth=3
	v_mov_b32_e32 v38, 0
	s_and_saveexec_b32 s41, s2
	s_cbranch_execz .LBB2_31
; %bb.28:                               ;   in Loop: Header=BB2_19 Depth=3
	v_add_nc_u64_e32 v[38:39], s[38:39], v[0:1]
	s_delay_alu instid0(VALU_DEP_1)
	v_cmp_gt_i64_e32 vcc_lo, s[26:27], v[38:39]
	v_mov_b32_e32 v38, 0
	s_and_saveexec_b32 s42, vcc_lo
	s_cbranch_execz .LBB2_30
; %bb.29:                               ;   in Loop: Header=BB2_19 Depth=3
	global_load_b32 v38, v[24:25], off
.LBB2_30:                               ;   in Loop: Header=BB2_19 Depth=3
	s_wait_xcnt 0x0
	s_or_b32 exec_lo, exec_lo, s42
.LBB2_31:                               ;   in Loop: Header=BB2_19 Depth=3
	s_delay_alu instid0(SALU_CYCLE_1)
	s_or_b32 exec_lo, exec_lo, s41
	s_cbranch_execnz .LBB2_21
.LBB2_32:                               ;   in Loop: Header=BB2_19 Depth=3
	s_wait_loadcnt 0x0
	v_mov_b32_e32 v38, 0
	s_and_saveexec_b32 s41, s2
	s_cbranch_execz .LBB2_36
; %bb.33:                               ;   in Loop: Header=BB2_19 Depth=3
	v_add_nc_u64_e32 v[38:39], s[38:39], v[0:1]
	s_delay_alu instid0(VALU_DEP_1)
	v_cmp_gt_i64_e32 vcc_lo, s[26:27], v[38:39]
	v_mov_b32_e32 v38, 0
	s_and_saveexec_b32 s42, vcc_lo
	s_cbranch_execz .LBB2_35
; %bb.34:                               ;   in Loop: Header=BB2_19 Depth=3
	global_load_b32 v38, v[26:27], off
.LBB2_35:                               ;   in Loop: Header=BB2_19 Depth=3
	s_wait_xcnt 0x0
	s_or_b32 exec_lo, exec_lo, s42
.LBB2_36:                               ;   in Loop: Header=BB2_19 Depth=3
	s_delay_alu instid0(SALU_CYCLE_1) | instskip(NEXT) | instid1(SALU_CYCLE_1)
	s_or_b32 exec_lo, exec_lo, s41
	s_and_b32 vcc_lo, exec_lo, s21
	s_wait_loadcnt 0x0
	ds_store_b32 v34, v38
	s_cbranch_vccnz .LBB2_22
.LBB2_37:                               ;   in Loop: Header=BB2_19 Depth=3
                                        ; implicit-def: $vgpr38
.LBB2_38:                               ;   in Loop: Header=BB2_19 Depth=3
	s_wait_loadcnt 0x0
	v_mov_b32_e32 v38, 0
	s_and_saveexec_b32 s41, s0
	s_cbranch_execz .LBB2_17
; %bb.39:                               ;   in Loop: Header=BB2_19 Depth=3
	v_add_nc_u64_e32 v[38:39], s[38:39], v[2:3]
	s_delay_alu instid0(VALU_DEP_1)
	v_cmp_gt_i64_e32 vcc_lo, s[26:27], v[38:39]
	v_mov_b32_e32 v38, 0
	s_and_saveexec_b32 s42, vcc_lo
	s_cbranch_execz .LBB2_16
; %bb.40:                               ;   in Loop: Header=BB2_19 Depth=3
	global_load_b32 v38, v[30:31], off
	s_branch .LBB2_16
.LBB2_41:                               ;   in Loop: Header=BB2_12 Depth=1
	v_cmp_gt_i64_e32 vcc_lo, s[26:27], v[18:19]
	s_and_b32 s36, s23, vcc_lo
	s_delay_alu instid0(SALU_CYCLE_1)
	s_and_saveexec_b32 s0, s36
	s_cbranch_execz .LBB2_11
; %bb.42:                               ;   in Loop: Header=BB2_12 Depth=1
	v_add_nc_u64_e32 v[18:19], s[16:17], v[18:19]
	s_and_b32 vcc_lo, exec_lo, s33
	s_cbranch_vccz .LBB2_48
; %bb.43:                               ;   in Loop: Header=BB2_12 Depth=1
	s_and_b32 vcc_lo, exec_lo, s40
	s_mov_b32 s36, -1
	s_cbranch_vccz .LBB2_45
; %bb.44:                               ;   in Loop: Header=BB2_12 Depth=1
	s_delay_alu instid0(VALU_DEP_1) | instskip(SKIP_2) | instid1(VALU_DEP_2)
	v_mul_u64_e32 v[20:21], s[6:7], v[18:19]
	v_mul_f32_e32 v23, s20, v37
	s_mov_b32 s36, 0
	v_lshl_add_u64 v[20:21], v[20:21], 2, v[6:7]
	global_load_b32 v22, v[20:21], off
	s_wait_loadcnt 0x0
	v_fmac_f32_e32 v23, s22, v22
	global_store_b32 v[20:21], v23, off
.LBB2_45:                               ;   in Loop: Header=BB2_12 Depth=1
	s_and_not1_b32 vcc_lo, exec_lo, s36
	s_cbranch_vccnz .LBB2_47
; %bb.46:                               ;   in Loop: Header=BB2_12 Depth=1
	s_wait_xcnt 0x0
	v_lshl_add_u64 v[20:21], v[18:19], 2, v[10:11]
	v_mul_f32_e32 v23, s20, v37
	global_load_b32 v22, v[20:21], off
	s_wait_loadcnt 0x0
	v_fmac_f32_e32 v23, s22, v22
	global_store_b32 v[20:21], v23, off
.LBB2_47:                               ;   in Loop: Header=BB2_12 Depth=1
	s_cbranch_execnz .LBB2_11
	s_branch .LBB2_49
.LBB2_48:                               ;   in Loop: Header=BB2_12 Depth=1
.LBB2_49:                               ;   in Loop: Header=BB2_12 Depth=1
	s_wait_xcnt 0x0
	v_mul_f32_e32 v20, s20, v37
	s_and_b32 vcc_lo, exec_lo, s40
	s_mov_b32 s36, -1
	s_cbranch_vccz .LBB2_51
; %bb.50:                               ;   in Loop: Header=BB2_12 Depth=1
	v_mul_u64_e32 v[22:23], s[6:7], v[18:19]
	s_mov_b32 s36, 0
	s_delay_alu instid0(VALU_DEP_1)
	v_lshl_add_u64 v[22:23], v[22:23], 2, v[6:7]
	global_store_b32 v[22:23], v20, off
.LBB2_51:                               ;   in Loop: Header=BB2_12 Depth=1
	s_and_not1_b32 vcc_lo, exec_lo, s36
	s_cbranch_vccnz .LBB2_11
; %bb.52:                               ;   in Loop: Header=BB2_12 Depth=1
	v_lshl_add_u64 v[18:19], v[18:19], 2, v[10:11]
	global_store_b32 v[18:19], v20, off
	s_branch .LBB2_11
.LBB2_53:
	s_endpgm
	.section	.rodata,"a",@progbits
	.p2align	6, 0x0
	.amdhsa_kernel _ZN9rocsparseL29bsrmm_general_blockdim_kernelILj32ELj32EllffffEEvb20rocsparse_direction_T2_S2_llNS_24const_host_device_scalarIT6_EEPKT1_PKS2_PKT3_S2_PKT4_llS5_PT5_ll16rocsparse_order_21rocsparse_index_base_b
		.amdhsa_group_segment_fixed_size 8192
		.amdhsa_private_segment_fixed_size 0
		.amdhsa_kernarg_size 148
		.amdhsa_user_sgpr_count 2
		.amdhsa_user_sgpr_dispatch_ptr 0
		.amdhsa_user_sgpr_queue_ptr 0
		.amdhsa_user_sgpr_kernarg_segment_ptr 1
		.amdhsa_user_sgpr_dispatch_id 0
		.amdhsa_user_sgpr_kernarg_preload_length 0
		.amdhsa_user_sgpr_kernarg_preload_offset 0
		.amdhsa_user_sgpr_private_segment_size 0
		.amdhsa_wavefront_size32 1
		.amdhsa_uses_dynamic_stack 0
		.amdhsa_enable_private_segment 0
		.amdhsa_system_sgpr_workgroup_id_x 1
		.amdhsa_system_sgpr_workgroup_id_y 1
		.amdhsa_system_sgpr_workgroup_id_z 0
		.amdhsa_system_sgpr_workgroup_info 0
		.amdhsa_system_vgpr_workitem_id 1
		.amdhsa_next_free_vgpr 52
		.amdhsa_next_free_sgpr 43
		.amdhsa_named_barrier_count 0
		.amdhsa_reserve_vcc 1
		.amdhsa_float_round_mode_32 0
		.amdhsa_float_round_mode_16_64 0
		.amdhsa_float_denorm_mode_32 3
		.amdhsa_float_denorm_mode_16_64 3
		.amdhsa_fp16_overflow 0
		.amdhsa_memory_ordered 1
		.amdhsa_forward_progress 1
		.amdhsa_inst_pref_size 17
		.amdhsa_round_robin_scheduling 0
		.amdhsa_exception_fp_ieee_invalid_op 0
		.amdhsa_exception_fp_denorm_src 0
		.amdhsa_exception_fp_ieee_div_zero 0
		.amdhsa_exception_fp_ieee_overflow 0
		.amdhsa_exception_fp_ieee_underflow 0
		.amdhsa_exception_fp_ieee_inexact 0
		.amdhsa_exception_int_div_zero 0
	.end_amdhsa_kernel
	.section	.text._ZN9rocsparseL29bsrmm_general_blockdim_kernelILj32ELj32EllffffEEvb20rocsparse_direction_T2_S2_llNS_24const_host_device_scalarIT6_EEPKT1_PKS2_PKT3_S2_PKT4_llS5_PT5_ll16rocsparse_order_21rocsparse_index_base_b,"axG",@progbits,_ZN9rocsparseL29bsrmm_general_blockdim_kernelILj32ELj32EllffffEEvb20rocsparse_direction_T2_S2_llNS_24const_host_device_scalarIT6_EEPKT1_PKS2_PKT3_S2_PKT4_llS5_PT5_ll16rocsparse_order_21rocsparse_index_base_b,comdat
.Lfunc_end2:
	.size	_ZN9rocsparseL29bsrmm_general_blockdim_kernelILj32ELj32EllffffEEvb20rocsparse_direction_T2_S2_llNS_24const_host_device_scalarIT6_EEPKT1_PKS2_PKT3_S2_PKT4_llS5_PT5_ll16rocsparse_order_21rocsparse_index_base_b, .Lfunc_end2-_ZN9rocsparseL29bsrmm_general_blockdim_kernelILj32ELj32EllffffEEvb20rocsparse_direction_T2_S2_llNS_24const_host_device_scalarIT6_EEPKT1_PKS2_PKT3_S2_PKT4_llS5_PT5_ll16rocsparse_order_21rocsparse_index_base_b
                                        ; -- End function
	.set _ZN9rocsparseL29bsrmm_general_blockdim_kernelILj32ELj32EllffffEEvb20rocsparse_direction_T2_S2_llNS_24const_host_device_scalarIT6_EEPKT1_PKS2_PKT3_S2_PKT4_llS5_PT5_ll16rocsparse_order_21rocsparse_index_base_b.num_vgpr, 52
	.set _ZN9rocsparseL29bsrmm_general_blockdim_kernelILj32ELj32EllffffEEvb20rocsparse_direction_T2_S2_llNS_24const_host_device_scalarIT6_EEPKT1_PKS2_PKT3_S2_PKT4_llS5_PT5_ll16rocsparse_order_21rocsparse_index_base_b.num_agpr, 0
	.set _ZN9rocsparseL29bsrmm_general_blockdim_kernelILj32ELj32EllffffEEvb20rocsparse_direction_T2_S2_llNS_24const_host_device_scalarIT6_EEPKT1_PKS2_PKT3_S2_PKT4_llS5_PT5_ll16rocsparse_order_21rocsparse_index_base_b.numbered_sgpr, 43
	.set _ZN9rocsparseL29bsrmm_general_blockdim_kernelILj32ELj32EllffffEEvb20rocsparse_direction_T2_S2_llNS_24const_host_device_scalarIT6_EEPKT1_PKS2_PKT3_S2_PKT4_llS5_PT5_ll16rocsparse_order_21rocsparse_index_base_b.num_named_barrier, 0
	.set _ZN9rocsparseL29bsrmm_general_blockdim_kernelILj32ELj32EllffffEEvb20rocsparse_direction_T2_S2_llNS_24const_host_device_scalarIT6_EEPKT1_PKS2_PKT3_S2_PKT4_llS5_PT5_ll16rocsparse_order_21rocsparse_index_base_b.private_seg_size, 0
	.set _ZN9rocsparseL29bsrmm_general_blockdim_kernelILj32ELj32EllffffEEvb20rocsparse_direction_T2_S2_llNS_24const_host_device_scalarIT6_EEPKT1_PKS2_PKT3_S2_PKT4_llS5_PT5_ll16rocsparse_order_21rocsparse_index_base_b.uses_vcc, 1
	.set _ZN9rocsparseL29bsrmm_general_blockdim_kernelILj32ELj32EllffffEEvb20rocsparse_direction_T2_S2_llNS_24const_host_device_scalarIT6_EEPKT1_PKS2_PKT3_S2_PKT4_llS5_PT5_ll16rocsparse_order_21rocsparse_index_base_b.uses_flat_scratch, 0
	.set _ZN9rocsparseL29bsrmm_general_blockdim_kernelILj32ELj32EllffffEEvb20rocsparse_direction_T2_S2_llNS_24const_host_device_scalarIT6_EEPKT1_PKS2_PKT3_S2_PKT4_llS5_PT5_ll16rocsparse_order_21rocsparse_index_base_b.has_dyn_sized_stack, 0
	.set _ZN9rocsparseL29bsrmm_general_blockdim_kernelILj32ELj32EllffffEEvb20rocsparse_direction_T2_S2_llNS_24const_host_device_scalarIT6_EEPKT1_PKS2_PKT3_S2_PKT4_llS5_PT5_ll16rocsparse_order_21rocsparse_index_base_b.has_recursion, 0
	.set _ZN9rocsparseL29bsrmm_general_blockdim_kernelILj32ELj32EllffffEEvb20rocsparse_direction_T2_S2_llNS_24const_host_device_scalarIT6_EEPKT1_PKS2_PKT3_S2_PKT4_llS5_PT5_ll16rocsparse_order_21rocsparse_index_base_b.has_indirect_call, 0
	.section	.AMDGPU.csdata,"",@progbits
; Kernel info:
; codeLenInByte = 2108
; TotalNumSgprs: 45
; NumVgprs: 52
; ScratchSize: 0
; MemoryBound: 0
; FloatMode: 240
; IeeeMode: 1
; LDSByteSize: 8192 bytes/workgroup (compile time only)
; SGPRBlocks: 0
; VGPRBlocks: 3
; NumSGPRsForWavesPerEU: 45
; NumVGPRsForWavesPerEU: 52
; NamedBarCnt: 0
; Occupancy: 16
; WaveLimiterHint : 1
; COMPUTE_PGM_RSRC2:SCRATCH_EN: 0
; COMPUTE_PGM_RSRC2:USER_SGPR: 2
; COMPUTE_PGM_RSRC2:TRAP_HANDLER: 0
; COMPUTE_PGM_RSRC2:TGID_X_EN: 1
; COMPUTE_PGM_RSRC2:TGID_Y_EN: 1
; COMPUTE_PGM_RSRC2:TGID_Z_EN: 0
; COMPUTE_PGM_RSRC2:TIDIG_COMP_CNT: 1
	.section	.text._ZN9rocsparseL29bsrmm_general_blockdim_kernelILj32ELj32EiiddddEEvb20rocsparse_direction_T2_S2_llNS_24const_host_device_scalarIT6_EEPKT1_PKS2_PKT3_S2_PKT4_llS5_PT5_ll16rocsparse_order_21rocsparse_index_base_b,"axG",@progbits,_ZN9rocsparseL29bsrmm_general_blockdim_kernelILj32ELj32EiiddddEEvb20rocsparse_direction_T2_S2_llNS_24const_host_device_scalarIT6_EEPKT1_PKS2_PKT3_S2_PKT4_llS5_PT5_ll16rocsparse_order_21rocsparse_index_base_b,comdat
	.globl	_ZN9rocsparseL29bsrmm_general_blockdim_kernelILj32ELj32EiiddddEEvb20rocsparse_direction_T2_S2_llNS_24const_host_device_scalarIT6_EEPKT1_PKS2_PKT3_S2_PKT4_llS5_PT5_ll16rocsparse_order_21rocsparse_index_base_b ; -- Begin function _ZN9rocsparseL29bsrmm_general_blockdim_kernelILj32ELj32EiiddddEEvb20rocsparse_direction_T2_S2_llNS_24const_host_device_scalarIT6_EEPKT1_PKS2_PKT3_S2_PKT4_llS5_PT5_ll16rocsparse_order_21rocsparse_index_base_b
	.p2align	8
	.type	_ZN9rocsparseL29bsrmm_general_blockdim_kernelILj32ELj32EiiddddEEvb20rocsparse_direction_T2_S2_llNS_24const_host_device_scalarIT6_EEPKT1_PKS2_PKT3_S2_PKT4_llS5_PT5_ll16rocsparse_order_21rocsparse_index_base_b,@function
_ZN9rocsparseL29bsrmm_general_blockdim_kernelILj32ELj32EiiddddEEvb20rocsparse_direction_T2_S2_llNS_24const_host_device_scalarIT6_EEPKT1_PKS2_PKT3_S2_PKT4_llS5_PT5_ll16rocsparse_order_21rocsparse_index_base_b: ; @_ZN9rocsparseL29bsrmm_general_blockdim_kernelILj32ELj32EiiddddEEvb20rocsparse_direction_T2_S2_llNS_24const_host_device_scalarIT6_EEPKT1_PKS2_PKT3_S2_PKT4_llS5_PT5_ll16rocsparse_order_21rocsparse_index_base_b
; %bb.0:
	s_clause 0x2
	s_load_b96 s[20:22], s[0:1], 0x80
	s_load_b64 s[4:5], s[0:1], 0x20
	s_load_b64 s[2:3], s[0:1], 0x60
	s_wait_kmcnt 0x0
	s_bitcmp1_b32 s22, 0
	v_mov_b64_e32 v[2:3], s[4:5]
	s_cselect_b32 s6, -1, 0
	s_delay_alu instid0(SALU_CYCLE_1)
	s_and_b32 vcc_lo, exec_lo, s6
	s_xor_b32 s6, s6, -1
	s_cbranch_vccnz .LBB3_2
; %bb.1:
	v_mov_b32_e32 v1, 0
	flat_load_b64 v[2:3], v1, s[4:5]
.LBB3_2:
	v_mov_b64_e32 v[4:5], s[2:3]
	s_and_not1_b32 vcc_lo, exec_lo, s6
	s_cbranch_vccnz .LBB3_4
; %bb.3:
	s_wait_xcnt 0x0
	v_mov_b32_e32 v1, 0
	flat_load_b64 v[4:5], v1, s[2:3]
.LBB3_4:
	s_wait_loadcnt_dscnt 0x0
	v_cmp_neq_f64_e32 vcc_lo, 0, v[2:3]
	s_delay_alu instid0(VALU_DEP_2) | instskip(SKIP_1) | instid1(SALU_CYCLE_1)
	v_cmp_neq_f64_e64 s2, 1.0, v[4:5]
	s_or_b32 s2, vcc_lo, s2
	s_and_saveexec_b32 s3, s2
	s_cbranch_execz .LBB3_54
; %bb.5:
	s_clause 0x1
	s_load_b128 s[16:19], s[0:1], 0x0
	s_load_b64 s[2:3], s[0:1], 0x28
	s_bfe_u32 s4, ttmp6, 0x4000c
	s_and_b32 s5, ttmp6, 15
	s_add_co_i32 s4, s4, 1
	s_getreg_b32 s12, hwreg(HW_REG_IB_STS2, 6, 4)
	s_mul_i32 s4, ttmp9, s4
	s_mov_b32 s24, 0
	s_add_co_i32 s5, s5, s4
	s_cmp_eq_u32 s12, 0
	s_cselect_b32 s22, ttmp9, s5
	s_wait_kmcnt 0x0
	s_cmp_lt_i32 s22, s18
	s_cselect_b32 s26, -1, 0
	s_cmp_ge_i32 s22, s18
	s_mov_b32 s18, 0
	s_cbranch_scc0 .LBB3_8
; %bb.6:
	s_and_not1_b32 vcc_lo, exec_lo, s26
	s_cbranch_vccz .LBB3_9
.LBB3_7:
	s_load_b32 s3, s[0:1], 0x40
	s_wait_kmcnt 0x0
	s_cmp_lt_i32 s3, 1
	s_cbranch_scc0 .LBB3_10
	s_branch .LBB3_54
.LBB3_8:
	s_ashr_i32 s23, s22, 31
	s_delay_alu instid0(SALU_CYCLE_1) | instskip(NEXT) | instid1(SALU_CYCLE_1)
	s_lshl_b64 s[4:5], s[22:23], 2
	s_add_nc_u64 s[4:5], s[2:3], s[4:5]
	s_load_b32 s4, s[4:5], 0x0
	s_wait_kmcnt 0x0
	s_sub_co_i32 s18, s4, s21
	s_and_not1_b32 vcc_lo, exec_lo, s26
	s_cbranch_vccnz .LBB3_7
.LBB3_9:
	s_ashr_i32 s23, s22, 31
	s_delay_alu instid0(SALU_CYCLE_1) | instskip(NEXT) | instid1(SALU_CYCLE_1)
	s_lshl_b64 s[4:5], s[22:23], 2
	s_add_nc_u64 s[2:3], s[2:3], s[4:5]
	s_load_b32 s2, s[2:3], 0x4
	s_wait_kmcnt 0x0
	s_sub_co_i32 s24, s2, s21
	s_load_b32 s3, s[0:1], 0x40
	s_wait_kmcnt 0x0
	s_cmp_lt_i32 s3, 1
	s_cbranch_scc1 .LBB3_54
.LBB3_10:
	s_bitcmp1_b32 s16, 0
	s_load_b128 s[4:7], s[0:1], 0x68
	s_cselect_b32 s2, -1, 0
	s_bfe_u32 s13, ttmp6, 0x40010
	s_load_b128 s[8:11], s[0:1], 0x48
	s_add_co_i32 s13, s13, 1
	s_bfe_u32 s14, ttmp6, 0x40004
	s_mul_i32 s13, ttmp7, s13
	v_bfe_u32 v16, v0, 10, 10
	s_xor_b32 s16, s2, -1
	s_add_co_i32 s14, s14, s13
	s_cmp_eq_u32 s12, 0
	v_and_b32_e32 v17, 0x3ff, v0
	s_cselect_b32 s2, ttmp7, s14
	s_load_b128 s[12:15], s[0:1], 0x30
	v_lshl_add_u32 v6, s2, 5, v16
	v_cmp_neq_f64_e64 s2, 0, v[4:5]
	v_mad_u32 v0, s18, s3, v17
	v_dual_lshlrev_b32 v18, 3, v17 :: v_dual_lshlrev_b32 v19, 8, v16
	s_delay_alu instid0(VALU_DEP_4)
	v_ashrrev_i32_e32 v7, 31, v6
	s_wait_xcnt 0x0
	v_cmp_gt_i32_e64 s0, s19, v6
	s_cmp_lt_i32 s18, s24
	v_or_b32_e32 v1, 0x2000, v18
	v_add_nc_u32_e32 v20, v18, v19
	s_wait_kmcnt 0x0
	v_mul_u64_e32 v[8:9], s[10:11], v[6:7]
	v_mul_u64_e32 v[10:11], s[6:7], v[6:7]
	v_lshlrev_b64_e32 v[6:7], 3, v[6:7]
	v_mad_u32 v24, s3, v0, v16
	s_cselect_b32 s25, -1, 0
	s_cmp_lg_u32 s17, 0
	v_add_nc_u32_e32 v23, v1, v19
	v_add_nc_u32_e32 v21, 0x800, v18
	;; [unrolled: 1-line block ×3, first 2 shown]
	v_add_nc_u64_e32 v[0:1], s[8:9], v[6:7]
	v_add_nc_u64_e32 v[6:7], s[4:5], v[6:7]
	s_cselect_b32 s17, -1, 0
	s_and_b32 s19, s26, s0
	v_add_nc_u32_e32 v25, 0x1800, v18
	s_cmp_lg_u32 s20, 1
	s_mov_b32 s23, 0
	s_mul_i32 s22, s3, s22
	s_mul_i32 s20, s3, s3
	v_lshl_add_u64 v[8:9], v[8:9], 3, s[8:9]
	v_lshl_add_u64 v[10:11], v[10:11], 3, s[4:5]
	s_cselect_b32 s8, -1, 0
	s_lshl_b32 s9, s3, 5
	s_branch .LBB3_12
.LBB3_11:                               ;   in Loop: Header=BB3_12 Depth=1
	s_wait_xcnt 0x0
	s_or_b32 exec_lo, exec_lo, s1
	v_add_nc_u32_e32 v24, s9, v24
	s_add_co_i32 s23, s23, 32
	s_delay_alu instid0(SALU_CYCLE_1)
	s_cmp_lt_i32 s23, s3
	s_cbranch_scc0 .LBB3_54
.LBB3_12:                               ; =>This Loop Header: Depth=1
                                        ;     Child Loop BB3_15 Depth 2
                                        ;       Child Loop BB3_17 Depth 3
	v_add_nc_u32_e32 v26, s23, v17
	v_mov_b64_e32 v[12:13], 0
	s_and_not1_b32 vcc_lo, exec_lo, s25
	s_delay_alu instid0(VALU_DEP_2)
	v_cmp_gt_i32_e64 s1, s3, v26
	s_cbranch_vccnz .LBB3_43
; %bb.13:                               ;   in Loop: Header=BB3_12 Depth=1
	v_mov_b64_e32 v[12:13], 0
	v_mov_b32_e32 v27, v24
	s_mov_b32 s4, s18
	s_branch .LBB3_15
.LBB3_14:                               ;   in Loop: Header=BB3_15 Depth=2
	v_add_nc_u32_e32 v27, s20, v27
	s_add_co_i32 s4, s4, 1
	s_delay_alu instid0(SALU_CYCLE_1)
	s_cmp_ge_i32 s4, s24
	s_cbranch_scc1 .LBB3_43
.LBB3_15:                               ;   Parent Loop BB3_12 Depth=1
                                        ; =>  This Loop Header: Depth=2
                                        ;       Child Loop BB3_17 Depth 3
	s_ashr_i32 s5, s4, 31
	s_delay_alu instid0(SALU_CYCLE_1) | instskip(NEXT) | instid1(SALU_CYCLE_1)
	s_lshl_b64 s[26:27], s[4:5], 2
	s_add_nc_u64 s[26:27], s[12:13], s[26:27]
	s_load_b32 s5, s[26:27], 0x0
	s_wait_xcnt 0x0
	s_mov_b32 s26, 0
	s_wait_kmcnt 0x0
	s_sub_co_i32 s5, s5, s21
	s_delay_alu instid0(SALU_CYCLE_1)
	v_mad_u32 v28, s5, s3, v17
	s_mul_i32 s5, s4, s3
	s_branch .LBB3_17
.LBB3_16:                               ;   in Loop: Header=BB3_17 Depth=3
	s_wait_xcnt 0x0
	s_or_b32 exec_lo, exec_lo, s28
	s_wait_loadcnt 0x0
	ds_store_b64 v20, v[14:15]
	s_wait_dscnt 0x0
	s_barrier_signal -1
	s_barrier_wait -1
	ds_load_2addr_b64 v[30:33], v18 offset1:32
	ds_load_b128 v[34:37], v19 offset:8192
	ds_load_b128 v[38:41], v19 offset:8208
	s_add_co_i32 s26, s26, 32
	s_delay_alu instid0(SALU_CYCLE_1) | instskip(SKIP_2) | instid1(VALU_DEP_1)
	s_cmp_ge_i32 s26, s3
	s_wait_dscnt 0x1
	v_fmac_f64_e32 v[12:13], v[30:31], v[34:35]
	v_fmac_f64_e32 v[12:13], v[32:33], v[36:37]
	ds_load_2addr_b64 v[30:33], v18 offset0:64 offset1:96
	s_wait_dscnt 0x0
	v_fmac_f64_e32 v[12:13], v[30:31], v[38:39]
	s_delay_alu instid0(VALU_DEP_1)
	v_fmac_f64_e32 v[12:13], v[32:33], v[40:41]
	ds_load_2addr_b64 v[30:33], v18 offset0:128 offset1:160
	ds_load_b128 v[34:37], v19 offset:8224
	ds_load_b128 v[38:41], v19 offset:8240
	s_wait_dscnt 0x1
	v_fmac_f64_e32 v[12:13], v[30:31], v[34:35]
	s_delay_alu instid0(VALU_DEP_1) | instskip(SKIP_3) | instid1(VALU_DEP_1)
	v_fmac_f64_e32 v[12:13], v[32:33], v[36:37]
	ds_load_2addr_b64 v[30:33], v18 offset0:192 offset1:224
	s_wait_dscnt 0x0
	v_fmac_f64_e32 v[12:13], v[30:31], v[38:39]
	v_fmac_f64_e32 v[12:13], v[32:33], v[40:41]
	ds_load_2addr_b64 v[30:33], v21 offset1:32
	ds_load_b128 v[34:37], v19 offset:8256
	ds_load_b128 v[38:41], v19 offset:8272
	s_wait_dscnt 0x1
	v_fmac_f64_e32 v[12:13], v[30:31], v[34:35]
	s_delay_alu instid0(VALU_DEP_1) | instskip(SKIP_3) | instid1(VALU_DEP_1)
	v_fmac_f64_e32 v[12:13], v[32:33], v[36:37]
	ds_load_2addr_b64 v[30:33], v21 offset0:64 offset1:96
	s_wait_dscnt 0x0
	v_fmac_f64_e32 v[12:13], v[30:31], v[38:39]
	v_fmac_f64_e32 v[12:13], v[32:33], v[40:41]
	ds_load_2addr_b64 v[30:33], v21 offset0:128 offset1:160
	ds_load_b128 v[34:37], v19 offset:8288
	ds_load_b128 v[38:41], v19 offset:8304
	s_wait_dscnt 0x1
	v_fmac_f64_e32 v[12:13], v[30:31], v[34:35]
	s_delay_alu instid0(VALU_DEP_1) | instskip(SKIP_3) | instid1(VALU_DEP_1)
	v_fmac_f64_e32 v[12:13], v[32:33], v[36:37]
	ds_load_2addr_b64 v[30:33], v21 offset0:192 offset1:224
	s_wait_dscnt 0x0
	v_fmac_f64_e32 v[12:13], v[30:31], v[38:39]
	v_fmac_f64_e32 v[12:13], v[32:33], v[40:41]
	ds_load_2addr_b64 v[30:33], v22 offset1:32
	ds_load_b128 v[34:37], v19 offset:8320
	ds_load_b128 v[38:41], v19 offset:8336
	s_wait_dscnt 0x1
	v_fmac_f64_e32 v[12:13], v[30:31], v[34:35]
	s_delay_alu instid0(VALU_DEP_1) | instskip(SKIP_3) | instid1(VALU_DEP_1)
	v_fmac_f64_e32 v[12:13], v[32:33], v[36:37]
	ds_load_2addr_b64 v[30:33], v22 offset0:64 offset1:96
	s_wait_dscnt 0x0
	v_fmac_f64_e32 v[12:13], v[30:31], v[38:39]
	;; [unrolled: 22-line block ×3, first 2 shown]
	v_fmac_f64_e32 v[12:13], v[32:33], v[40:41]
	ds_load_2addr_b64 v[30:33], v25 offset0:128 offset1:160
	ds_load_b128 v[34:37], v19 offset:8416
	ds_load_b128 v[38:41], v19 offset:8432
	s_wait_dscnt 0x1
	v_fmac_f64_e32 v[12:13], v[30:31], v[34:35]
	s_delay_alu instid0(VALU_DEP_1)
	v_fmac_f64_e32 v[12:13], v[32:33], v[36:37]
	ds_load_2addr_b64 v[30:33], v25 offset0:192 offset1:224
	s_wait_dscnt 0x0
	s_barrier_signal -1
	s_barrier_wait -1
	v_fmac_f64_e32 v[12:13], v[30:31], v[38:39]
	s_delay_alu instid0(VALU_DEP_1)
	v_fmac_f64_e32 v[12:13], v[32:33], v[40:41]
	s_cbranch_scc1 .LBB3_14
.LBB3_17:                               ;   Parent Loop BB3_12 Depth=1
                                        ;     Parent Loop BB3_15 Depth=2
                                        ; =>    This Inner Loop Header: Depth=3
	s_and_b32 vcc_lo, exec_lo, s16
	s_mov_b32 s27, -1
                                        ; implicit-def: $vgpr14_vgpr15
	s_cbranch_vccnz .LBB3_26
; %bb.18:                               ;   in Loop: Header=BB3_17 Depth=3
	s_and_not1_b32 vcc_lo, exec_lo, s27
	s_cbranch_vccz .LBB3_31
.LBB3_19:                               ;   in Loop: Header=BB3_17 Depth=3
	s_and_b32 vcc_lo, exec_lo, s17
	s_wait_loadcnt 0x0
	ds_store_b64 v23, v[14:15]
	s_cbranch_vccz .LBB3_36
.LBB3_20:                               ;   in Loop: Header=BB3_17 Depth=3
	s_mov_b32 s28, 0
	s_mov_b32 s27, 0
                                        ; implicit-def: $vgpr29
	s_and_saveexec_b32 s29, s1
	s_cbranch_execz .LBB3_24
; %bb.21:                               ;   in Loop: Header=BB3_17 Depth=3
	v_add_nc_u32_e32 v14, s26, v16
	s_mov_b32 s30, exec_lo
                                        ; implicit-def: $vgpr29
	s_delay_alu instid0(VALU_DEP_1)
	v_cmpx_gt_i32_e64 s3, v14
	s_xor_b32 s30, exec_lo, s30
; %bb.22:                               ;   in Loop: Header=BB3_17 Depth=3
	v_add_nc_u32_e32 v14, s5, v14
	s_mov_b32 s27, exec_lo
	s_delay_alu instid0(VALU_DEP_1)
	v_mad_u32 v29, v14, s3, v26
; %bb.23:                               ;   in Loop: Header=BB3_17 Depth=3
	s_or_b32 exec_lo, exec_lo, s30
	s_delay_alu instid0(SALU_CYCLE_1)
	s_and_b32 s27, s27, exec_lo
.LBB3_24:                               ;   in Loop: Header=BB3_17 Depth=3
	s_or_b32 exec_lo, exec_lo, s29
	s_delay_alu instid0(SALU_CYCLE_1)
	s_and_b32 vcc_lo, exec_lo, s28
	s_cbranch_vccnz .LBB3_37
.LBB3_25:                               ;   in Loop: Header=BB3_17 Depth=3
	v_mov_b64_e32 v[14:15], 0
	s_and_saveexec_b32 s28, s27
	s_cbranch_execz .LBB3_16
	s_branch .LBB3_42
.LBB3_26:                               ;   in Loop: Header=BB3_17 Depth=3
	v_mov_b64_e32 v[14:15], 0
	s_and_saveexec_b32 s27, s0
	s_cbranch_execz .LBB3_30
; %bb.27:                               ;   in Loop: Header=BB3_17 Depth=3
	v_mov_b64_e32 v[14:15], 0
	v_add_nc_u32_e32 v29, s26, v17
	s_mov_b32 s28, exec_lo
	s_delay_alu instid0(VALU_DEP_1)
	v_cmpx_gt_i32_e64 s3, v29
	s_cbranch_execz .LBB3_29
; %bb.28:                               ;   in Loop: Header=BB3_17 Depth=3
	v_add_nc_u32_e32 v14, s26, v28
	s_delay_alu instid0(VALU_DEP_1) | instskip(NEXT) | instid1(VALU_DEP_1)
	v_ashrrev_i32_e32 v15, 31, v14
	v_mul_u64_e32 v[14:15], s[10:11], v[14:15]
	s_delay_alu instid0(VALU_DEP_1)
	v_lshl_add_u64 v[14:15], v[14:15], 3, v[0:1]
	global_load_b64 v[14:15], v[14:15], off
.LBB3_29:                               ;   in Loop: Header=BB3_17 Depth=3
	s_wait_xcnt 0x0
	s_or_b32 exec_lo, exec_lo, s28
.LBB3_30:                               ;   in Loop: Header=BB3_17 Depth=3
	s_delay_alu instid0(SALU_CYCLE_1)
	s_or_b32 exec_lo, exec_lo, s27
	s_cbranch_execnz .LBB3_19
.LBB3_31:                               ;   in Loop: Header=BB3_17 Depth=3
	s_wait_loadcnt 0x0
	v_mov_b64_e32 v[14:15], 0
	s_and_saveexec_b32 s27, s0
	s_cbranch_execz .LBB3_35
; %bb.32:                               ;   in Loop: Header=BB3_17 Depth=3
	v_mov_b64_e32 v[14:15], 0
	v_add_nc_u32_e32 v29, s26, v17
	s_mov_b32 s28, exec_lo
	s_delay_alu instid0(VALU_DEP_1)
	v_cmpx_gt_i32_e64 s3, v29
	s_cbranch_execz .LBB3_34
; %bb.33:                               ;   in Loop: Header=BB3_17 Depth=3
	v_add_nc_u32_e32 v14, s26, v28
	s_delay_alu instid0(VALU_DEP_1) | instskip(NEXT) | instid1(VALU_DEP_1)
	v_ashrrev_i32_e32 v15, 31, v14
	v_lshl_add_u64 v[14:15], v[14:15], 3, v[8:9]
	global_load_b64 v[14:15], v[14:15], off
.LBB3_34:                               ;   in Loop: Header=BB3_17 Depth=3
	s_wait_xcnt 0x0
	s_or_b32 exec_lo, exec_lo, s28
.LBB3_35:                               ;   in Loop: Header=BB3_17 Depth=3
	s_delay_alu instid0(SALU_CYCLE_1) | instskip(NEXT) | instid1(SALU_CYCLE_1)
	s_or_b32 exec_lo, exec_lo, s27
	s_and_b32 vcc_lo, exec_lo, s17
	s_wait_loadcnt 0x0
	ds_store_b64 v23, v[14:15]
	s_cbranch_vccnz .LBB3_20
.LBB3_36:                               ;   in Loop: Header=BB3_17 Depth=3
	s_mov_b32 s27, 0
                                        ; implicit-def: $vgpr29
	s_cbranch_execz .LBB3_25
.LBB3_37:                               ;   in Loop: Header=BB3_17 Depth=3
                                        ; implicit-def: $vgpr29
	s_and_saveexec_b32 s28, s1
	s_cbranch_execz .LBB3_41
; %bb.38:                               ;   in Loop: Header=BB3_17 Depth=3
	v_add_nc_u32_e32 v14, s26, v16
	s_mov_b32 s29, s27
	s_mov_b32 s30, exec_lo
                                        ; implicit-def: $vgpr29
	s_delay_alu instid0(VALU_DEP_1)
	v_cmpx_gt_i32_e64 s3, v14
; %bb.39:                               ;   in Loop: Header=BB3_17 Depth=3
	v_add_nc_u32_e32 v29, s26, v27
	s_or_b32 s29, s27, exec_lo
; %bb.40:                               ;   in Loop: Header=BB3_17 Depth=3
	s_or_b32 exec_lo, exec_lo, s30
	s_delay_alu instid0(SALU_CYCLE_1) | instskip(SKIP_1) | instid1(SALU_CYCLE_1)
	s_and_not1_b32 s27, s27, exec_lo
	s_and_b32 s29, s29, exec_lo
	s_or_b32 s27, s27, s29
.LBB3_41:                               ;   in Loop: Header=BB3_17 Depth=3
	s_or_b32 exec_lo, exec_lo, s28
	v_mov_b64_e32 v[14:15], 0
	s_and_saveexec_b32 s28, s27
	s_cbranch_execz .LBB3_16
.LBB3_42:                               ;   in Loop: Header=BB3_17 Depth=3
	global_load_b64 v[14:15], v29, s[14:15] scale_offset
	s_branch .LBB3_16
.LBB3_43:                               ;   in Loop: Header=BB3_12 Depth=1
	v_cmp_gt_i32_e32 vcc_lo, s3, v26
	s_and_b32 s4, s19, vcc_lo
	s_delay_alu instid0(SALU_CYCLE_1)
	s_and_saveexec_b32 s1, s4
	s_cbranch_execz .LBB3_11
; %bb.44:                               ;   in Loop: Header=BB3_12 Depth=1
	v_add_nc_u32_e32 v14, s22, v26
	s_delay_alu instid0(VALU_DEP_1) | instskip(SKIP_1) | instid1(SALU_CYCLE_1)
	v_ashrrev_i32_e32 v15, 31, v14
	s_and_saveexec_b32 s4, s2
	s_xor_b32 s4, exec_lo, s4
	s_cbranch_execz .LBB3_49
; %bb.45:                               ;   in Loop: Header=BB3_12 Depth=1
	s_and_b32 vcc_lo, exec_lo, s8
	s_mov_b32 s5, -1
	s_cbranch_vccz .LBB3_47
; %bb.46:                               ;   in Loop: Header=BB3_12 Depth=1
	v_mul_u64_e32 v[26:27], s[6:7], v[14:15]
	v_mul_f64_e32 v[30:31], v[2:3], v[12:13]
	s_mov_b32 s5, 0
	s_delay_alu instid0(VALU_DEP_2)
	v_lshl_add_u64 v[26:27], v[26:27], 3, v[6:7]
	global_load_b64 v[28:29], v[26:27], off
	s_wait_loadcnt 0x0
	v_fmac_f64_e32 v[30:31], v[4:5], v[28:29]
	global_store_b64 v[26:27], v[30:31], off
.LBB3_47:                               ;   in Loop: Header=BB3_12 Depth=1
	s_and_not1_b32 vcc_lo, exec_lo, s5
	s_cbranch_vccnz .LBB3_49
; %bb.48:                               ;   in Loop: Header=BB3_12 Depth=1
	v_lshl_add_u64 v[14:15], v[14:15], 3, v[10:11]
	v_mul_f64_e32 v[12:13], v[2:3], v[12:13]
	global_load_b64 v[26:27], v[14:15], off
	s_wait_loadcnt 0x0
	v_fmac_f64_e32 v[12:13], v[4:5], v[26:27]
	global_store_b64 v[14:15], v[12:13], off
                                        ; implicit-def: $vgpr12_vgpr13
                                        ; implicit-def: $vgpr14
.LBB3_49:                               ;   in Loop: Header=BB3_12 Depth=1
	s_wait_xcnt 0x0
	s_and_not1_saveexec_b32 s4, s4
	s_cbranch_execz .LBB3_11
; %bb.50:                               ;   in Loop: Header=BB3_12 Depth=1
	v_mul_f64_e32 v[12:13], v[2:3], v[12:13]
	s_and_b32 vcc_lo, exec_lo, s8
	s_mov_b32 s4, -1
	s_cbranch_vccz .LBB3_52
; %bb.51:                               ;   in Loop: Header=BB3_12 Depth=1
	v_mul_u64_e32 v[26:27], s[6:7], v[14:15]
	s_mov_b32 s4, 0
	s_delay_alu instid0(VALU_DEP_1)
	v_lshl_add_u64 v[26:27], v[26:27], 3, v[6:7]
	global_store_b64 v[26:27], v[12:13], off
.LBB3_52:                               ;   in Loop: Header=BB3_12 Depth=1
	s_and_not1_b32 vcc_lo, exec_lo, s4
	s_cbranch_vccnz .LBB3_11
; %bb.53:                               ;   in Loop: Header=BB3_12 Depth=1
	v_lshl_add_u64 v[14:15], v[14:15], 3, v[10:11]
	global_store_b64 v[14:15], v[12:13], off
	s_branch .LBB3_11
.LBB3_54:
	s_endpgm
	.section	.rodata,"a",@progbits
	.p2align	6, 0x0
	.amdhsa_kernel _ZN9rocsparseL29bsrmm_general_blockdim_kernelILj32ELj32EiiddddEEvb20rocsparse_direction_T2_S2_llNS_24const_host_device_scalarIT6_EEPKT1_PKS2_PKT3_S2_PKT4_llS5_PT5_ll16rocsparse_order_21rocsparse_index_base_b
		.amdhsa_group_segment_fixed_size 16384
		.amdhsa_private_segment_fixed_size 0
		.amdhsa_kernarg_size 140
		.amdhsa_user_sgpr_count 2
		.amdhsa_user_sgpr_dispatch_ptr 0
		.amdhsa_user_sgpr_queue_ptr 0
		.amdhsa_user_sgpr_kernarg_segment_ptr 1
		.amdhsa_user_sgpr_dispatch_id 0
		.amdhsa_user_sgpr_kernarg_preload_length 0
		.amdhsa_user_sgpr_kernarg_preload_offset 0
		.amdhsa_user_sgpr_private_segment_size 0
		.amdhsa_wavefront_size32 1
		.amdhsa_uses_dynamic_stack 0
		.amdhsa_enable_private_segment 0
		.amdhsa_system_sgpr_workgroup_id_x 1
		.amdhsa_system_sgpr_workgroup_id_y 1
		.amdhsa_system_sgpr_workgroup_id_z 0
		.amdhsa_system_sgpr_workgroup_info 0
		.amdhsa_system_vgpr_workitem_id 1
		.amdhsa_next_free_vgpr 42
		.amdhsa_next_free_sgpr 31
		.amdhsa_named_barrier_count 0
		.amdhsa_reserve_vcc 1
		.amdhsa_float_round_mode_32 0
		.amdhsa_float_round_mode_16_64 0
		.amdhsa_float_denorm_mode_32 3
		.amdhsa_float_denorm_mode_16_64 3
		.amdhsa_fp16_overflow 0
		.amdhsa_memory_ordered 1
		.amdhsa_forward_progress 1
		.amdhsa_inst_pref_size 16
		.amdhsa_round_robin_scheduling 0
		.amdhsa_exception_fp_ieee_invalid_op 0
		.amdhsa_exception_fp_denorm_src 0
		.amdhsa_exception_fp_ieee_div_zero 0
		.amdhsa_exception_fp_ieee_overflow 0
		.amdhsa_exception_fp_ieee_underflow 0
		.amdhsa_exception_fp_ieee_inexact 0
		.amdhsa_exception_int_div_zero 0
	.end_amdhsa_kernel
	.section	.text._ZN9rocsparseL29bsrmm_general_blockdim_kernelILj32ELj32EiiddddEEvb20rocsparse_direction_T2_S2_llNS_24const_host_device_scalarIT6_EEPKT1_PKS2_PKT3_S2_PKT4_llS5_PT5_ll16rocsparse_order_21rocsparse_index_base_b,"axG",@progbits,_ZN9rocsparseL29bsrmm_general_blockdim_kernelILj32ELj32EiiddddEEvb20rocsparse_direction_T2_S2_llNS_24const_host_device_scalarIT6_EEPKT1_PKS2_PKT3_S2_PKT4_llS5_PT5_ll16rocsparse_order_21rocsparse_index_base_b,comdat
.Lfunc_end3:
	.size	_ZN9rocsparseL29bsrmm_general_blockdim_kernelILj32ELj32EiiddddEEvb20rocsparse_direction_T2_S2_llNS_24const_host_device_scalarIT6_EEPKT1_PKS2_PKT3_S2_PKT4_llS5_PT5_ll16rocsparse_order_21rocsparse_index_base_b, .Lfunc_end3-_ZN9rocsparseL29bsrmm_general_blockdim_kernelILj32ELj32EiiddddEEvb20rocsparse_direction_T2_S2_llNS_24const_host_device_scalarIT6_EEPKT1_PKS2_PKT3_S2_PKT4_llS5_PT5_ll16rocsparse_order_21rocsparse_index_base_b
                                        ; -- End function
	.set _ZN9rocsparseL29bsrmm_general_blockdim_kernelILj32ELj32EiiddddEEvb20rocsparse_direction_T2_S2_llNS_24const_host_device_scalarIT6_EEPKT1_PKS2_PKT3_S2_PKT4_llS5_PT5_ll16rocsparse_order_21rocsparse_index_base_b.num_vgpr, 42
	.set _ZN9rocsparseL29bsrmm_general_blockdim_kernelILj32ELj32EiiddddEEvb20rocsparse_direction_T2_S2_llNS_24const_host_device_scalarIT6_EEPKT1_PKS2_PKT3_S2_PKT4_llS5_PT5_ll16rocsparse_order_21rocsparse_index_base_b.num_agpr, 0
	.set _ZN9rocsparseL29bsrmm_general_blockdim_kernelILj32ELj32EiiddddEEvb20rocsparse_direction_T2_S2_llNS_24const_host_device_scalarIT6_EEPKT1_PKS2_PKT3_S2_PKT4_llS5_PT5_ll16rocsparse_order_21rocsparse_index_base_b.numbered_sgpr, 31
	.set _ZN9rocsparseL29bsrmm_general_blockdim_kernelILj32ELj32EiiddddEEvb20rocsparse_direction_T2_S2_llNS_24const_host_device_scalarIT6_EEPKT1_PKS2_PKT3_S2_PKT4_llS5_PT5_ll16rocsparse_order_21rocsparse_index_base_b.num_named_barrier, 0
	.set _ZN9rocsparseL29bsrmm_general_blockdim_kernelILj32ELj32EiiddddEEvb20rocsparse_direction_T2_S2_llNS_24const_host_device_scalarIT6_EEPKT1_PKS2_PKT3_S2_PKT4_llS5_PT5_ll16rocsparse_order_21rocsparse_index_base_b.private_seg_size, 0
	.set _ZN9rocsparseL29bsrmm_general_blockdim_kernelILj32ELj32EiiddddEEvb20rocsparse_direction_T2_S2_llNS_24const_host_device_scalarIT6_EEPKT1_PKS2_PKT3_S2_PKT4_llS5_PT5_ll16rocsparse_order_21rocsparse_index_base_b.uses_vcc, 1
	.set _ZN9rocsparseL29bsrmm_general_blockdim_kernelILj32ELj32EiiddddEEvb20rocsparse_direction_T2_S2_llNS_24const_host_device_scalarIT6_EEPKT1_PKS2_PKT3_S2_PKT4_llS5_PT5_ll16rocsparse_order_21rocsparse_index_base_b.uses_flat_scratch, 0
	.set _ZN9rocsparseL29bsrmm_general_blockdim_kernelILj32ELj32EiiddddEEvb20rocsparse_direction_T2_S2_llNS_24const_host_device_scalarIT6_EEPKT1_PKS2_PKT3_S2_PKT4_llS5_PT5_ll16rocsparse_order_21rocsparse_index_base_b.has_dyn_sized_stack, 0
	.set _ZN9rocsparseL29bsrmm_general_blockdim_kernelILj32ELj32EiiddddEEvb20rocsparse_direction_T2_S2_llNS_24const_host_device_scalarIT6_EEPKT1_PKS2_PKT3_S2_PKT4_llS5_PT5_ll16rocsparse_order_21rocsparse_index_base_b.has_recursion, 0
	.set _ZN9rocsparseL29bsrmm_general_blockdim_kernelILj32ELj32EiiddddEEvb20rocsparse_direction_T2_S2_llNS_24const_host_device_scalarIT6_EEPKT1_PKS2_PKT3_S2_PKT4_llS5_PT5_ll16rocsparse_order_21rocsparse_index_base_b.has_indirect_call, 0
	.section	.AMDGPU.csdata,"",@progbits
; Kernel info:
; codeLenInByte = 2036
; TotalNumSgprs: 33
; NumVgprs: 42
; ScratchSize: 0
; MemoryBound: 0
; FloatMode: 240
; IeeeMode: 1
; LDSByteSize: 16384 bytes/workgroup (compile time only)
; SGPRBlocks: 0
; VGPRBlocks: 2
; NumSGPRsForWavesPerEU: 33
; NumVGPRsForWavesPerEU: 42
; NamedBarCnt: 0
; Occupancy: 16
; WaveLimiterHint : 1
; COMPUTE_PGM_RSRC2:SCRATCH_EN: 0
; COMPUTE_PGM_RSRC2:USER_SGPR: 2
; COMPUTE_PGM_RSRC2:TRAP_HANDLER: 0
; COMPUTE_PGM_RSRC2:TGID_X_EN: 1
; COMPUTE_PGM_RSRC2:TGID_Y_EN: 1
; COMPUTE_PGM_RSRC2:TGID_Z_EN: 0
; COMPUTE_PGM_RSRC2:TIDIG_COMP_CNT: 1
	.section	.text._ZN9rocsparseL29bsrmm_general_blockdim_kernelILj32ELj32EliddddEEvb20rocsparse_direction_T2_S2_llNS_24const_host_device_scalarIT6_EEPKT1_PKS2_PKT3_S2_PKT4_llS5_PT5_ll16rocsparse_order_21rocsparse_index_base_b,"axG",@progbits,_ZN9rocsparseL29bsrmm_general_blockdim_kernelILj32ELj32EliddddEEvb20rocsparse_direction_T2_S2_llNS_24const_host_device_scalarIT6_EEPKT1_PKS2_PKT3_S2_PKT4_llS5_PT5_ll16rocsparse_order_21rocsparse_index_base_b,comdat
	.globl	_ZN9rocsparseL29bsrmm_general_blockdim_kernelILj32ELj32EliddddEEvb20rocsparse_direction_T2_S2_llNS_24const_host_device_scalarIT6_EEPKT1_PKS2_PKT3_S2_PKT4_llS5_PT5_ll16rocsparse_order_21rocsparse_index_base_b ; -- Begin function _ZN9rocsparseL29bsrmm_general_blockdim_kernelILj32ELj32EliddddEEvb20rocsparse_direction_T2_S2_llNS_24const_host_device_scalarIT6_EEPKT1_PKS2_PKT3_S2_PKT4_llS5_PT5_ll16rocsparse_order_21rocsparse_index_base_b
	.p2align	8
	.type	_ZN9rocsparseL29bsrmm_general_blockdim_kernelILj32ELj32EliddddEEvb20rocsparse_direction_T2_S2_llNS_24const_host_device_scalarIT6_EEPKT1_PKS2_PKT3_S2_PKT4_llS5_PT5_ll16rocsparse_order_21rocsparse_index_base_b,@function
_ZN9rocsparseL29bsrmm_general_blockdim_kernelILj32ELj32EliddddEEvb20rocsparse_direction_T2_S2_llNS_24const_host_device_scalarIT6_EEPKT1_PKS2_PKT3_S2_PKT4_llS5_PT5_ll16rocsparse_order_21rocsparse_index_base_b: ; @_ZN9rocsparseL29bsrmm_general_blockdim_kernelILj32ELj32EliddddEEvb20rocsparse_direction_T2_S2_llNS_24const_host_device_scalarIT6_EEPKT1_PKS2_PKT3_S2_PKT4_llS5_PT5_ll16rocsparse_order_21rocsparse_index_base_b
; %bb.0:
	s_clause 0x2
	s_load_b96 s[20:22], s[0:1], 0x80
	s_load_b64 s[4:5], s[0:1], 0x20
	s_load_b64 s[2:3], s[0:1], 0x60
	s_wait_kmcnt 0x0
	s_bitcmp1_b32 s22, 0
	v_mov_b64_e32 v[2:3], s[4:5]
	s_cselect_b32 s6, -1, 0
	s_delay_alu instid0(SALU_CYCLE_1)
	s_and_b32 vcc_lo, exec_lo, s6
	s_xor_b32 s6, s6, -1
	s_cbranch_vccnz .LBB4_2
; %bb.1:
	v_mov_b32_e32 v1, 0
	flat_load_b64 v[2:3], v1, s[4:5]
.LBB4_2:
	v_mov_b64_e32 v[4:5], s[2:3]
	s_and_not1_b32 vcc_lo, exec_lo, s6
	s_cbranch_vccnz .LBB4_4
; %bb.3:
	s_wait_xcnt 0x0
	v_mov_b32_e32 v1, 0
	flat_load_b64 v[4:5], v1, s[2:3]
.LBB4_4:
	s_wait_loadcnt_dscnt 0x0
	v_cmp_neq_f64_e32 vcc_lo, 0, v[2:3]
	s_delay_alu instid0(VALU_DEP_2) | instskip(SKIP_2) | instid1(SALU_CYCLE_1)
	v_cmp_neq_f64_e64 s2, 1.0, v[4:5]
	s_mov_b64 s[22:23], 0
	s_or_b32 s2, vcc_lo, s2
	s_and_saveexec_b32 s3, s2
	s_cbranch_execz .LBB4_50
; %bb.5:
	s_clause 0x1
	s_load_b128 s[16:19], s[0:1], 0x0
	s_load_b64 s[2:3], s[0:1], 0x28
	s_bfe_u32 s4, ttmp6, 0x4000c
	s_and_b32 s5, ttmp6, 15
	s_add_co_i32 s4, s4, 1
	s_getreg_b32 s12, hwreg(HW_REG_IB_STS2, 6, 4)
	s_mul_i32 s4, ttmp9, s4
	s_delay_alu instid0(SALU_CYCLE_1)
	s_add_co_i32 s5, s5, s4
	s_cmp_eq_u32 s12, 0
	s_cselect_b32 s26, ttmp9, s5
	s_mov_b32 s5, 0
	s_wait_kmcnt 0x0
	s_cmp_lt_i32 s26, s18
	s_cselect_b32 s29, -1, 0
	s_cmp_ge_i32 s26, s18
	s_cbranch_scc0 .LBB4_8
; %bb.6:
	s_and_not1_b32 vcc_lo, exec_lo, s29
	s_mov_b64 s[24:25], 0
	s_cbranch_vccz .LBB4_9
.LBB4_7:
	s_load_b32 s3, s[0:1], 0x40
	s_wait_kmcnt 0x0
	s_cmp_lt_i32 s3, 1
	s_cbranch_scc0 .LBB4_10
	s_branch .LBB4_50
.LBB4_8:
	s_ashr_i32 s27, s26, 31
	s_mov_b32 s4, s21
	s_lshl_b64 s[6:7], s[26:27], 3
	s_delay_alu instid0(SALU_CYCLE_1)
	s_add_nc_u64 s[6:7], s[2:3], s[6:7]
	s_load_b64 s[6:7], s[6:7], 0x0
	s_wait_kmcnt 0x0
	s_sub_nc_u64 s[22:23], s[6:7], s[4:5]
	s_and_not1_b32 vcc_lo, exec_lo, s29
	s_mov_b64 s[24:25], 0
	s_cbranch_vccnz .LBB4_7
.LBB4_9:
	s_ashr_i32 s27, s26, 31
	s_delay_alu instid0(SALU_CYCLE_1) | instskip(NEXT) | instid1(SALU_CYCLE_1)
	s_lshl_b64 s[4:5], s[26:27], 3
	s_add_nc_u64 s[2:3], s[2:3], s[4:5]
	s_mov_b32 s5, 0
	s_load_b64 s[2:3], s[2:3], 0x8
	s_mov_b32 s4, s21
	s_wait_kmcnt 0x0
	s_sub_nc_u64 s[24:25], s[2:3], s[4:5]
	s_load_b32 s3, s[0:1], 0x40
	s_wait_kmcnt 0x0
	s_cmp_lt_i32 s3, 1
	s_cbranch_scc1 .LBB4_50
.LBB4_10:
	s_bitcmp1_b32 s16, 0
	s_load_b128 s[4:7], s[0:1], 0x68
	s_cselect_b32 s2, -1, 0
	s_bfe_u32 s13, ttmp6, 0x40010
	s_load_b128 s[8:11], s[0:1], 0x48
	s_add_co_i32 s13, s13, 1
	s_bfe_u32 s14, ttmp6, 0x40004
	s_mul_i32 s13, ttmp7, s13
	v_bfe_u32 v20, v0, 10, 10
	s_xor_b32 s16, s2, -1
	s_add_co_i32 s14, s14, s13
	s_cmp_eq_u32 s12, 0
	v_and_b32_e32 v21, 0x3ff, v0
	s_cselect_b32 s2, ttmp7, s14
	s_load_b128 s[12:15], s[0:1], 0x30
	v_lshl_add_u32 v6, s2, 5, v20
	v_cmp_neq_f64_e64 s2, 0, v[4:5]
	v_dual_lshlrev_b32 v23, 8, v20 :: v_dual_lshlrev_b32 v22, 3, v21
	v_cmp_lt_i64_e64 s28, s[22:23], s[24:25]
	s_delay_alu instid0(VALU_DEP_4)
	v_ashrrev_i32_e32 v7, 31, v6
	s_wait_xcnt 0x0
	v_cmp_gt_i32_e64 s0, s19, v6
	s_cmp_lg_u32 s17, 0
	v_or_b32_e32 v0, 0x2000, v22
	v_add_nc_u32_e32 v24, v22, v23
	s_wait_kmcnt 0x0
	v_mul_u64_e32 v[8:9], s[10:11], v[6:7]
	v_mul_u64_e32 v[10:11], s[6:7], v[6:7]
	v_lshlrev_b64_e32 v[6:7], 3, v[6:7]
	v_add_nc_u32_e32 v27, v0, v23
	v_add_nc_u32_e32 v25, 0x800, v22
	;; [unrolled: 1-line block ×3, first 2 shown]
	s_cselect_b32 s17, -1, 0
	s_and_b32 s19, s29, s0
	v_add_nc_u32_e32 v28, 0x1800, v22
	v_add_nc_u64_e32 v[0:1], s[8:9], v[6:7]
	v_add_nc_u64_e32 v[6:7], s[4:5], v[6:7]
	s_mov_b32 s27, 0
	s_cmp_lg_u32 s20, 1
	s_mul_i32 s18, s3, s26
	s_mul_i32 s26, s3, s3
	s_cselect_b32 s20, -1, 0
	s_mov_b32 s29, s27
	v_lshl_add_u64 v[8:9], v[8:9], 3, s[8:9]
	v_lshl_add_u64 v[10:11], v[10:11], 3, s[4:5]
	s_branch .LBB4_12
.LBB4_11:                               ;   in Loop: Header=BB4_12 Depth=1
	s_wait_xcnt 0x0
	s_or_b32 exec_lo, exec_lo, s1
	s_add_co_i32 s29, s29, 32
	s_delay_alu instid0(SALU_CYCLE_1)
	s_cmp_lt_i32 s29, s3
	s_cbranch_scc0 .LBB4_50
.LBB4_12:                               ; =>This Loop Header: Depth=1
                                        ;     Child Loop BB4_15 Depth 2
                                        ;       Child Loop BB4_17 Depth 3
	v_add_nc_u32_e32 v29, s29, v21
	v_mov_b64_e32 v[12:13], 0
	s_and_not1_b32 vcc_lo, exec_lo, s28
	s_delay_alu instid0(VALU_DEP_2)
	v_cmp_gt_i32_e64 s1, s3, v29
	s_cbranch_vccnz .LBB4_39
; %bb.13:                               ;   in Loop: Header=BB4_12 Depth=1
	v_mul_lo_u32 v30, v29, s3
	v_mov_b64_e32 v[12:13], 0
	s_mov_b64 s[4:5], s[22:23]
	s_branch .LBB4_15
.LBB4_14:                               ;   in Loop: Header=BB4_15 Depth=2
	s_add_nc_u64 s[4:5], s[4:5], 1
	s_delay_alu instid0(SALU_CYCLE_1)
	v_cmp_ge_i64_e64 s8, s[4:5], s[24:25]
	s_and_b32 vcc_lo, exec_lo, s8
	s_cbranch_vccnz .LBB4_39
.LBB4_15:                               ;   Parent Loop BB4_12 Depth=1
                                        ; =>  This Loop Header: Depth=2
                                        ;       Child Loop BB4_17 Depth 3
	s_lshl_b64 s[8:9], s[4:5], 2
	s_mov_b32 s30, 0
	s_add_nc_u64 s[8:9], s[12:13], s[8:9]
	s_load_b32 s8, s[8:9], 0x0
	s_wait_kmcnt 0x0
	s_wait_xcnt 0x0
	s_sub_co_i32 s8, s8, s21
	s_delay_alu instid0(SALU_CYCLE_1) | instskip(SKIP_1) | instid1(SALU_CYCLE_1)
	v_mad_u32 v31, s8, s3, v21
	s_mul_u64 s[8:9], s[4:5], s[26:27]
	s_lshl_b64 s[8:9], s[8:9], 3
	s_delay_alu instid0(SALU_CYCLE_1)
	s_add_nc_u64 s[8:9], s[14:15], s[8:9]
	s_branch .LBB4_17
.LBB4_16:                               ;   in Loop: Header=BB4_17 Depth=3
	s_wait_xcnt 0x0
	s_or_b32 exec_lo, exec_lo, s31
	s_wait_loadcnt 0x0
	ds_store_b64 v24, v[18:19]
	s_wait_dscnt 0x0
	s_barrier_signal -1
	s_barrier_wait -1
	ds_load_2addr_b64 v[14:17], v22 offset1:32
	ds_load_b128 v[32:35], v23 offset:8192
	ds_load_b128 v[36:39], v23 offset:8208
	s_add_co_i32 s30, s30, 32
	s_delay_alu instid0(SALU_CYCLE_1) | instskip(SKIP_2) | instid1(VALU_DEP_1)
	s_cmp_ge_i32 s30, s3
	s_wait_dscnt 0x1
	v_fmac_f64_e32 v[12:13], v[14:15], v[32:33]
	v_fmac_f64_e32 v[12:13], v[16:17], v[34:35]
	ds_load_2addr_b64 v[14:17], v22 offset0:64 offset1:96
	s_wait_dscnt 0x0
	v_fmac_f64_e32 v[12:13], v[14:15], v[36:37]
	s_delay_alu instid0(VALU_DEP_1)
	v_fmac_f64_e32 v[12:13], v[16:17], v[38:39]
	ds_load_2addr_b64 v[14:17], v22 offset0:128 offset1:160
	ds_load_b128 v[32:35], v23 offset:8224
	ds_load_b128 v[36:39], v23 offset:8240
	s_wait_dscnt 0x1
	v_fmac_f64_e32 v[12:13], v[14:15], v[32:33]
	s_delay_alu instid0(VALU_DEP_1) | instskip(SKIP_3) | instid1(VALU_DEP_1)
	v_fmac_f64_e32 v[12:13], v[16:17], v[34:35]
	ds_load_2addr_b64 v[14:17], v22 offset0:192 offset1:224
	s_wait_dscnt 0x0
	v_fmac_f64_e32 v[12:13], v[14:15], v[36:37]
	v_fmac_f64_e32 v[12:13], v[16:17], v[38:39]
	ds_load_2addr_b64 v[14:17], v25 offset1:32
	ds_load_b128 v[32:35], v23 offset:8256
	ds_load_b128 v[36:39], v23 offset:8272
	s_wait_dscnt 0x1
	v_fmac_f64_e32 v[12:13], v[14:15], v[32:33]
	s_delay_alu instid0(VALU_DEP_1) | instskip(SKIP_3) | instid1(VALU_DEP_1)
	v_fmac_f64_e32 v[12:13], v[16:17], v[34:35]
	ds_load_2addr_b64 v[14:17], v25 offset0:64 offset1:96
	s_wait_dscnt 0x0
	v_fmac_f64_e32 v[12:13], v[14:15], v[36:37]
	v_fmac_f64_e32 v[12:13], v[16:17], v[38:39]
	ds_load_2addr_b64 v[14:17], v25 offset0:128 offset1:160
	ds_load_b128 v[32:35], v23 offset:8288
	ds_load_b128 v[36:39], v23 offset:8304
	s_wait_dscnt 0x1
	v_fmac_f64_e32 v[12:13], v[14:15], v[32:33]
	s_delay_alu instid0(VALU_DEP_1) | instskip(SKIP_3) | instid1(VALU_DEP_1)
	v_fmac_f64_e32 v[12:13], v[16:17], v[34:35]
	ds_load_2addr_b64 v[14:17], v25 offset0:192 offset1:224
	s_wait_dscnt 0x0
	v_fmac_f64_e32 v[12:13], v[14:15], v[36:37]
	v_fmac_f64_e32 v[12:13], v[16:17], v[38:39]
	ds_load_2addr_b64 v[14:17], v26 offset1:32
	ds_load_b128 v[32:35], v23 offset:8320
	ds_load_b128 v[36:39], v23 offset:8336
	s_wait_dscnt 0x1
	v_fmac_f64_e32 v[12:13], v[14:15], v[32:33]
	s_delay_alu instid0(VALU_DEP_1) | instskip(SKIP_3) | instid1(VALU_DEP_1)
	v_fmac_f64_e32 v[12:13], v[16:17], v[34:35]
	ds_load_2addr_b64 v[14:17], v26 offset0:64 offset1:96
	s_wait_dscnt 0x0
	v_fmac_f64_e32 v[12:13], v[14:15], v[36:37]
	v_fmac_f64_e32 v[12:13], v[16:17], v[38:39]
	ds_load_2addr_b64 v[14:17], v26 offset0:128 offset1:160
	ds_load_b128 v[32:35], v23 offset:8352
	ds_load_b128 v[36:39], v23 offset:8368
	s_wait_dscnt 0x1
	v_fmac_f64_e32 v[12:13], v[14:15], v[32:33]
	s_delay_alu instid0(VALU_DEP_1) | instskip(SKIP_3) | instid1(VALU_DEP_1)
	v_fmac_f64_e32 v[12:13], v[16:17], v[34:35]
	ds_load_2addr_b64 v[14:17], v26 offset0:192 offset1:224
	s_wait_dscnt 0x0
	v_fmac_f64_e32 v[12:13], v[14:15], v[36:37]
	v_fmac_f64_e32 v[12:13], v[16:17], v[38:39]
	ds_load_2addr_b64 v[14:17], v28 offset1:32
	ds_load_b128 v[32:35], v23 offset:8384
	ds_load_b128 v[36:39], v23 offset:8400
	s_wait_dscnt 0x1
	v_fmac_f64_e32 v[12:13], v[14:15], v[32:33]
	s_delay_alu instid0(VALU_DEP_1) | instskip(SKIP_3) | instid1(VALU_DEP_1)
	v_fmac_f64_e32 v[12:13], v[16:17], v[34:35]
	ds_load_2addr_b64 v[14:17], v28 offset0:64 offset1:96
	s_wait_dscnt 0x0
	v_fmac_f64_e32 v[12:13], v[14:15], v[36:37]
	v_fmac_f64_e32 v[12:13], v[16:17], v[38:39]
	ds_load_2addr_b64 v[14:17], v28 offset0:128 offset1:160
	ds_load_b128 v[32:35], v23 offset:8416
	ds_load_b128 v[36:39], v23 offset:8432
	s_wait_dscnt 0x1
	v_fmac_f64_e32 v[12:13], v[14:15], v[32:33]
	s_delay_alu instid0(VALU_DEP_1)
	v_fmac_f64_e32 v[12:13], v[16:17], v[34:35]
	ds_load_2addr_b64 v[14:17], v28 offset0:192 offset1:224
	s_wait_dscnt 0x0
	s_barrier_signal -1
	s_barrier_wait -1
	v_fmac_f64_e32 v[12:13], v[14:15], v[36:37]
	s_delay_alu instid0(VALU_DEP_1)
	v_fmac_f64_e32 v[12:13], v[16:17], v[38:39]
	s_cbranch_scc1 .LBB4_14
.LBB4_17:                               ;   Parent Loop BB4_12 Depth=1
                                        ;     Parent Loop BB4_15 Depth=2
                                        ; =>    This Inner Loop Header: Depth=3
	s_and_b32 vcc_lo, exec_lo, s16
	s_mov_b32 s31, -1
                                        ; implicit-def: $vgpr14_vgpr15
	s_cbranch_vccnz .LBB4_26
; %bb.18:                               ;   in Loop: Header=BB4_17 Depth=3
	s_and_not1_b32 vcc_lo, exec_lo, s31
	s_cbranch_vccz .LBB4_31
.LBB4_19:                               ;   in Loop: Header=BB4_17 Depth=3
	s_and_b32 vcc_lo, exec_lo, s17
	s_wait_loadcnt 0x0
	ds_store_b64 v27, v[14:15]
	s_cbranch_vccz .LBB4_36
.LBB4_20:                               ;   in Loop: Header=BB4_17 Depth=3
	s_mov_b32 s31, 0
	s_mov_b32 s33, 0
                                        ; implicit-def: $vgpr14
	s_and_saveexec_b32 s34, s1
	s_cbranch_execz .LBB4_24
; %bb.21:                               ;   in Loop: Header=BB4_17 Depth=3
	v_add_nc_u32_e32 v15, s30, v20
	s_mov_b32 s35, exec_lo
                                        ; implicit-def: $vgpr14
	s_delay_alu instid0(VALU_DEP_1)
	v_cmpx_gt_i32_e64 s3, v15
	s_xor_b32 s35, exec_lo, s35
; %bb.22:                               ;   in Loop: Header=BB4_17 Depth=3
	s_mov_b32 s33, exec_lo
	v_mul_lo_u32 v14, v15, s3
; %bb.23:                               ;   in Loop: Header=BB4_17 Depth=3
	s_or_b32 exec_lo, exec_lo, s35
	s_delay_alu instid0(SALU_CYCLE_1)
	s_and_b32 s33, s33, exec_lo
.LBB4_24:                               ;   in Loop: Header=BB4_17 Depth=3
	s_or_b32 exec_lo, exec_lo, s34
	s_delay_alu instid0(SALU_CYCLE_1)
	s_and_b32 vcc_lo, exec_lo, s31
	s_cbranch_vccz .LBB4_37
.LBB4_25:                               ;   in Loop: Header=BB4_17 Depth=3
	v_dual_add_nc_u32 v14, s30, v20 :: v_dual_mov_b32 v16, v30
	s_and_not1_b32 s33, s33, exec_lo
	s_delay_alu instid0(VALU_DEP_1) | instskip(SKIP_1) | instid1(SALU_CYCLE_1)
	v_cmp_gt_i32_e32 vcc_lo, s3, v14
	s_and_b32 s31, s1, vcc_lo
	s_and_b32 s31, s31, exec_lo
	s_delay_alu instid0(SALU_CYCLE_1)
	s_or_b32 s33, s33, s31
	v_mov_b64_e32 v[18:19], 0
	s_and_saveexec_b32 s31, s33
	s_cbranch_execz .LBB4_16
	s_branch .LBB4_38
.LBB4_26:                               ;   in Loop: Header=BB4_17 Depth=3
	v_mov_b64_e32 v[14:15], 0
	s_and_saveexec_b32 s31, s0
	s_cbranch_execz .LBB4_30
; %bb.27:                               ;   in Loop: Header=BB4_17 Depth=3
	v_mov_b64_e32 v[14:15], 0
	v_add_nc_u32_e32 v16, s30, v21
	s_mov_b32 s33, exec_lo
	s_delay_alu instid0(VALU_DEP_1)
	v_cmpx_gt_i32_e64 s3, v16
	s_cbranch_execz .LBB4_29
; %bb.28:                               ;   in Loop: Header=BB4_17 Depth=3
	v_add_nc_u32_e32 v14, s30, v31
	s_delay_alu instid0(VALU_DEP_1) | instskip(NEXT) | instid1(VALU_DEP_1)
	v_ashrrev_i32_e32 v15, 31, v14
	v_mul_u64_e32 v[14:15], s[10:11], v[14:15]
	s_delay_alu instid0(VALU_DEP_1)
	v_lshl_add_u64 v[14:15], v[14:15], 3, v[0:1]
	global_load_b64 v[14:15], v[14:15], off
.LBB4_29:                               ;   in Loop: Header=BB4_17 Depth=3
	s_wait_xcnt 0x0
	s_or_b32 exec_lo, exec_lo, s33
.LBB4_30:                               ;   in Loop: Header=BB4_17 Depth=3
	s_delay_alu instid0(SALU_CYCLE_1)
	s_or_b32 exec_lo, exec_lo, s31
	s_cbranch_execnz .LBB4_19
.LBB4_31:                               ;   in Loop: Header=BB4_17 Depth=3
	s_wait_loadcnt 0x0
	v_mov_b64_e32 v[14:15], 0
	s_and_saveexec_b32 s31, s0
	s_cbranch_execz .LBB4_35
; %bb.32:                               ;   in Loop: Header=BB4_17 Depth=3
	v_mov_b64_e32 v[14:15], 0
	v_add_nc_u32_e32 v16, s30, v21
	s_mov_b32 s33, exec_lo
	s_delay_alu instid0(VALU_DEP_1)
	v_cmpx_gt_i32_e64 s3, v16
	s_cbranch_execz .LBB4_34
; %bb.33:                               ;   in Loop: Header=BB4_17 Depth=3
	v_add_nc_u32_e32 v14, s30, v31
	s_delay_alu instid0(VALU_DEP_1) | instskip(NEXT) | instid1(VALU_DEP_1)
	v_ashrrev_i32_e32 v15, 31, v14
	v_lshl_add_u64 v[14:15], v[14:15], 3, v[8:9]
	global_load_b64 v[14:15], v[14:15], off
.LBB4_34:                               ;   in Loop: Header=BB4_17 Depth=3
	s_wait_xcnt 0x0
	s_or_b32 exec_lo, exec_lo, s33
.LBB4_35:                               ;   in Loop: Header=BB4_17 Depth=3
	s_delay_alu instid0(SALU_CYCLE_1) | instskip(NEXT) | instid1(SALU_CYCLE_1)
	s_or_b32 exec_lo, exec_lo, s31
	s_and_b32 vcc_lo, exec_lo, s17
	s_wait_loadcnt 0x0
	ds_store_b64 v27, v[14:15]
	s_cbranch_vccnz .LBB4_20
.LBB4_36:                               ;   in Loop: Header=BB4_17 Depth=3
	s_mov_b32 s33, 0
                                        ; implicit-def: $vgpr14
	s_cbranch_execnz .LBB4_25
.LBB4_37:                               ;   in Loop: Header=BB4_17 Depth=3
	v_mov_b32_e32 v16, v29
	v_mov_b64_e32 v[18:19], 0
	s_and_saveexec_b32 s31, s33
	s_cbranch_execz .LBB4_16
.LBB4_38:                               ;   in Loop: Header=BB4_17 Depth=3
	s_delay_alu instid0(VALU_DEP_2) | instskip(NEXT) | instid1(VALU_DEP_1)
	v_dual_ashrrev_i32 v17, 31, v16 :: v_dual_ashrrev_i32 v15, 31, v14
	v_lshl_add_u64 v[16:17], v[16:17], 3, s[8:9]
	s_delay_alu instid0(VALU_DEP_1)
	v_lshl_add_u64 v[14:15], v[14:15], 3, v[16:17]
	global_load_b64 v[18:19], v[14:15], off
	s_branch .LBB4_16
.LBB4_39:                               ;   in Loop: Header=BB4_12 Depth=1
	v_cmp_gt_i32_e32 vcc_lo, s3, v29
	s_and_b32 s4, s19, vcc_lo
	s_delay_alu instid0(SALU_CYCLE_1)
	s_and_saveexec_b32 s1, s4
	s_cbranch_execz .LBB4_11
; %bb.40:                               ;   in Loop: Header=BB4_12 Depth=1
	v_add_nc_u32_e32 v14, s18, v29
	s_delay_alu instid0(VALU_DEP_1) | instskip(SKIP_1) | instid1(SALU_CYCLE_1)
	v_ashrrev_i32_e32 v15, 31, v14
	s_and_saveexec_b32 s4, s2
	s_xor_b32 s4, exec_lo, s4
	s_cbranch_execz .LBB4_45
; %bb.41:                               ;   in Loop: Header=BB4_12 Depth=1
	s_and_b32 vcc_lo, exec_lo, s20
	s_mov_b32 s5, -1
	s_cbranch_vccz .LBB4_43
; %bb.42:                               ;   in Loop: Header=BB4_12 Depth=1
	v_mul_u64_e32 v[16:17], s[6:7], v[14:15]
	v_mul_f64_e32 v[30:31], v[2:3], v[12:13]
	s_mov_b32 s5, 0
	s_delay_alu instid0(VALU_DEP_2)
	v_lshl_add_u64 v[16:17], v[16:17], 3, v[6:7]
	global_load_b64 v[18:19], v[16:17], off
	s_wait_loadcnt 0x0
	v_fmac_f64_e32 v[30:31], v[4:5], v[18:19]
	global_store_b64 v[16:17], v[30:31], off
.LBB4_43:                               ;   in Loop: Header=BB4_12 Depth=1
	s_and_not1_b32 vcc_lo, exec_lo, s5
	s_cbranch_vccnz .LBB4_45
; %bb.44:                               ;   in Loop: Header=BB4_12 Depth=1
	v_lshl_add_u64 v[14:15], v[14:15], 3, v[10:11]
	v_mul_f64_e32 v[12:13], v[2:3], v[12:13]
	global_load_b64 v[16:17], v[14:15], off
	s_wait_loadcnt 0x0
	v_fmac_f64_e32 v[12:13], v[4:5], v[16:17]
	global_store_b64 v[14:15], v[12:13], off
                                        ; implicit-def: $vgpr12_vgpr13
                                        ; implicit-def: $vgpr14
.LBB4_45:                               ;   in Loop: Header=BB4_12 Depth=1
	s_wait_xcnt 0x0
	s_and_not1_saveexec_b32 s4, s4
	s_cbranch_execz .LBB4_11
; %bb.46:                               ;   in Loop: Header=BB4_12 Depth=1
	v_mul_f64_e32 v[12:13], v[2:3], v[12:13]
	s_and_b32 vcc_lo, exec_lo, s20
	s_mov_b32 s4, -1
	s_cbranch_vccz .LBB4_48
; %bb.47:                               ;   in Loop: Header=BB4_12 Depth=1
	v_mul_u64_e32 v[16:17], s[6:7], v[14:15]
	s_mov_b32 s4, 0
	s_delay_alu instid0(VALU_DEP_1)
	v_lshl_add_u64 v[16:17], v[16:17], 3, v[6:7]
	global_store_b64 v[16:17], v[12:13], off
.LBB4_48:                               ;   in Loop: Header=BB4_12 Depth=1
	s_and_not1_b32 vcc_lo, exec_lo, s4
	s_cbranch_vccnz .LBB4_11
; %bb.49:                               ;   in Loop: Header=BB4_12 Depth=1
	v_lshl_add_u64 v[14:15], v[14:15], 3, v[10:11]
	global_store_b64 v[14:15], v[12:13], off
	s_branch .LBB4_11
.LBB4_50:
	s_endpgm
	.section	.rodata,"a",@progbits
	.p2align	6, 0x0
	.amdhsa_kernel _ZN9rocsparseL29bsrmm_general_blockdim_kernelILj32ELj32EliddddEEvb20rocsparse_direction_T2_S2_llNS_24const_host_device_scalarIT6_EEPKT1_PKS2_PKT3_S2_PKT4_llS5_PT5_ll16rocsparse_order_21rocsparse_index_base_b
		.amdhsa_group_segment_fixed_size 16384
		.amdhsa_private_segment_fixed_size 0
		.amdhsa_kernarg_size 140
		.amdhsa_user_sgpr_count 2
		.amdhsa_user_sgpr_dispatch_ptr 0
		.amdhsa_user_sgpr_queue_ptr 0
		.amdhsa_user_sgpr_kernarg_segment_ptr 1
		.amdhsa_user_sgpr_dispatch_id 0
		.amdhsa_user_sgpr_kernarg_preload_length 0
		.amdhsa_user_sgpr_kernarg_preload_offset 0
		.amdhsa_user_sgpr_private_segment_size 0
		.amdhsa_wavefront_size32 1
		.amdhsa_uses_dynamic_stack 0
		.amdhsa_enable_private_segment 0
		.amdhsa_system_sgpr_workgroup_id_x 1
		.amdhsa_system_sgpr_workgroup_id_y 1
		.amdhsa_system_sgpr_workgroup_id_z 0
		.amdhsa_system_sgpr_workgroup_info 0
		.amdhsa_system_vgpr_workitem_id 1
		.amdhsa_next_free_vgpr 40
		.amdhsa_next_free_sgpr 36
		.amdhsa_named_barrier_count 0
		.amdhsa_reserve_vcc 1
		.amdhsa_float_round_mode_32 0
		.amdhsa_float_round_mode_16_64 0
		.amdhsa_float_denorm_mode_32 3
		.amdhsa_float_denorm_mode_16_64 3
		.amdhsa_fp16_overflow 0
		.amdhsa_memory_ordered 1
		.amdhsa_forward_progress 1
		.amdhsa_inst_pref_size 17
		.amdhsa_round_robin_scheduling 0
		.amdhsa_exception_fp_ieee_invalid_op 0
		.amdhsa_exception_fp_denorm_src 0
		.amdhsa_exception_fp_ieee_div_zero 0
		.amdhsa_exception_fp_ieee_overflow 0
		.amdhsa_exception_fp_ieee_underflow 0
		.amdhsa_exception_fp_ieee_inexact 0
		.amdhsa_exception_int_div_zero 0
	.end_amdhsa_kernel
	.section	.text._ZN9rocsparseL29bsrmm_general_blockdim_kernelILj32ELj32EliddddEEvb20rocsparse_direction_T2_S2_llNS_24const_host_device_scalarIT6_EEPKT1_PKS2_PKT3_S2_PKT4_llS5_PT5_ll16rocsparse_order_21rocsparse_index_base_b,"axG",@progbits,_ZN9rocsparseL29bsrmm_general_blockdim_kernelILj32ELj32EliddddEEvb20rocsparse_direction_T2_S2_llNS_24const_host_device_scalarIT6_EEPKT1_PKS2_PKT3_S2_PKT4_llS5_PT5_ll16rocsparse_order_21rocsparse_index_base_b,comdat
.Lfunc_end4:
	.size	_ZN9rocsparseL29bsrmm_general_blockdim_kernelILj32ELj32EliddddEEvb20rocsparse_direction_T2_S2_llNS_24const_host_device_scalarIT6_EEPKT1_PKS2_PKT3_S2_PKT4_llS5_PT5_ll16rocsparse_order_21rocsparse_index_base_b, .Lfunc_end4-_ZN9rocsparseL29bsrmm_general_blockdim_kernelILj32ELj32EliddddEEvb20rocsparse_direction_T2_S2_llNS_24const_host_device_scalarIT6_EEPKT1_PKS2_PKT3_S2_PKT4_llS5_PT5_ll16rocsparse_order_21rocsparse_index_base_b
                                        ; -- End function
	.set _ZN9rocsparseL29bsrmm_general_blockdim_kernelILj32ELj32EliddddEEvb20rocsparse_direction_T2_S2_llNS_24const_host_device_scalarIT6_EEPKT1_PKS2_PKT3_S2_PKT4_llS5_PT5_ll16rocsparse_order_21rocsparse_index_base_b.num_vgpr, 40
	.set _ZN9rocsparseL29bsrmm_general_blockdim_kernelILj32ELj32EliddddEEvb20rocsparse_direction_T2_S2_llNS_24const_host_device_scalarIT6_EEPKT1_PKS2_PKT3_S2_PKT4_llS5_PT5_ll16rocsparse_order_21rocsparse_index_base_b.num_agpr, 0
	.set _ZN9rocsparseL29bsrmm_general_blockdim_kernelILj32ELj32EliddddEEvb20rocsparse_direction_T2_S2_llNS_24const_host_device_scalarIT6_EEPKT1_PKS2_PKT3_S2_PKT4_llS5_PT5_ll16rocsparse_order_21rocsparse_index_base_b.numbered_sgpr, 36
	.set _ZN9rocsparseL29bsrmm_general_blockdim_kernelILj32ELj32EliddddEEvb20rocsparse_direction_T2_S2_llNS_24const_host_device_scalarIT6_EEPKT1_PKS2_PKT3_S2_PKT4_llS5_PT5_ll16rocsparse_order_21rocsparse_index_base_b.num_named_barrier, 0
	.set _ZN9rocsparseL29bsrmm_general_blockdim_kernelILj32ELj32EliddddEEvb20rocsparse_direction_T2_S2_llNS_24const_host_device_scalarIT6_EEPKT1_PKS2_PKT3_S2_PKT4_llS5_PT5_ll16rocsparse_order_21rocsparse_index_base_b.private_seg_size, 0
	.set _ZN9rocsparseL29bsrmm_general_blockdim_kernelILj32ELj32EliddddEEvb20rocsparse_direction_T2_S2_llNS_24const_host_device_scalarIT6_EEPKT1_PKS2_PKT3_S2_PKT4_llS5_PT5_ll16rocsparse_order_21rocsparse_index_base_b.uses_vcc, 1
	.set _ZN9rocsparseL29bsrmm_general_blockdim_kernelILj32ELj32EliddddEEvb20rocsparse_direction_T2_S2_llNS_24const_host_device_scalarIT6_EEPKT1_PKS2_PKT3_S2_PKT4_llS5_PT5_ll16rocsparse_order_21rocsparse_index_base_b.uses_flat_scratch, 0
	.set _ZN9rocsparseL29bsrmm_general_blockdim_kernelILj32ELj32EliddddEEvb20rocsparse_direction_T2_S2_llNS_24const_host_device_scalarIT6_EEPKT1_PKS2_PKT3_S2_PKT4_llS5_PT5_ll16rocsparse_order_21rocsparse_index_base_b.has_dyn_sized_stack, 0
	.set _ZN9rocsparseL29bsrmm_general_blockdim_kernelILj32ELj32EliddddEEvb20rocsparse_direction_T2_S2_llNS_24const_host_device_scalarIT6_EEPKT1_PKS2_PKT3_S2_PKT4_llS5_PT5_ll16rocsparse_order_21rocsparse_index_base_b.has_recursion, 0
	.set _ZN9rocsparseL29bsrmm_general_blockdim_kernelILj32ELj32EliddddEEvb20rocsparse_direction_T2_S2_llNS_24const_host_device_scalarIT6_EEPKT1_PKS2_PKT3_S2_PKT4_llS5_PT5_ll16rocsparse_order_21rocsparse_index_base_b.has_indirect_call, 0
	.section	.AMDGPU.csdata,"",@progbits
; Kernel info:
; codeLenInByte = 2060
; TotalNumSgprs: 38
; NumVgprs: 40
; ScratchSize: 0
; MemoryBound: 0
; FloatMode: 240
; IeeeMode: 1
; LDSByteSize: 16384 bytes/workgroup (compile time only)
; SGPRBlocks: 0
; VGPRBlocks: 2
; NumSGPRsForWavesPerEU: 38
; NumVGPRsForWavesPerEU: 40
; NamedBarCnt: 0
; Occupancy: 16
; WaveLimiterHint : 1
; COMPUTE_PGM_RSRC2:SCRATCH_EN: 0
; COMPUTE_PGM_RSRC2:USER_SGPR: 2
; COMPUTE_PGM_RSRC2:TRAP_HANDLER: 0
; COMPUTE_PGM_RSRC2:TGID_X_EN: 1
; COMPUTE_PGM_RSRC2:TGID_Y_EN: 1
; COMPUTE_PGM_RSRC2:TGID_Z_EN: 0
; COMPUTE_PGM_RSRC2:TIDIG_COMP_CNT: 1
	.section	.text._ZN9rocsparseL29bsrmm_general_blockdim_kernelILj32ELj32EllddddEEvb20rocsparse_direction_T2_S2_llNS_24const_host_device_scalarIT6_EEPKT1_PKS2_PKT3_S2_PKT4_llS5_PT5_ll16rocsparse_order_21rocsparse_index_base_b,"axG",@progbits,_ZN9rocsparseL29bsrmm_general_blockdim_kernelILj32ELj32EllddddEEvb20rocsparse_direction_T2_S2_llNS_24const_host_device_scalarIT6_EEPKT1_PKS2_PKT3_S2_PKT4_llS5_PT5_ll16rocsparse_order_21rocsparse_index_base_b,comdat
	.globl	_ZN9rocsparseL29bsrmm_general_blockdim_kernelILj32ELj32EllddddEEvb20rocsparse_direction_T2_S2_llNS_24const_host_device_scalarIT6_EEPKT1_PKS2_PKT3_S2_PKT4_llS5_PT5_ll16rocsparse_order_21rocsparse_index_base_b ; -- Begin function _ZN9rocsparseL29bsrmm_general_blockdim_kernelILj32ELj32EllddddEEvb20rocsparse_direction_T2_S2_llNS_24const_host_device_scalarIT6_EEPKT1_PKS2_PKT3_S2_PKT4_llS5_PT5_ll16rocsparse_order_21rocsparse_index_base_b
	.p2align	8
	.type	_ZN9rocsparseL29bsrmm_general_blockdim_kernelILj32ELj32EllddddEEvb20rocsparse_direction_T2_S2_llNS_24const_host_device_scalarIT6_EEPKT1_PKS2_PKT3_S2_PKT4_llS5_PT5_ll16rocsparse_order_21rocsparse_index_base_b,@function
_ZN9rocsparseL29bsrmm_general_blockdim_kernelILj32ELj32EllddddEEvb20rocsparse_direction_T2_S2_llNS_24const_host_device_scalarIT6_EEPKT1_PKS2_PKT3_S2_PKT4_llS5_PT5_ll16rocsparse_order_21rocsparse_index_base_b: ; @_ZN9rocsparseL29bsrmm_general_blockdim_kernelILj32ELj32EllddddEEvb20rocsparse_direction_T2_S2_llNS_24const_host_device_scalarIT6_EEPKT1_PKS2_PKT3_S2_PKT4_llS5_PT5_ll16rocsparse_order_21rocsparse_index_base_b
; %bb.0:
	s_clause 0x2
	s_load_b96 s[16:18], s[0:1], 0x88
	s_load_b64 s[4:5], s[0:1], 0x28
	s_load_b64 s[2:3], s[0:1], 0x68
	s_wait_kmcnt 0x0
	s_bitcmp1_b32 s18, 0
	v_mov_b64_e32 v[2:3], s[4:5]
	s_cselect_b32 s6, -1, 0
	s_delay_alu instid0(SALU_CYCLE_1)
	s_and_b32 vcc_lo, exec_lo, s6
	s_xor_b32 s6, s6, -1
	s_cbranch_vccnz .LBB5_2
; %bb.1:
	v_mov_b32_e32 v1, 0
	flat_load_b64 v[2:3], v1, s[4:5]
.LBB5_2:
	v_mov_b64_e32 v[4:5], s[2:3]
	s_and_not1_b32 vcc_lo, exec_lo, s6
	s_cbranch_vccnz .LBB5_4
; %bb.3:
	s_wait_xcnt 0x0
	v_mov_b32_e32 v1, 0
	flat_load_b64 v[4:5], v1, s[2:3]
.LBB5_4:
	s_wait_loadcnt_dscnt 0x0
	v_cmp_neq_f64_e32 vcc_lo, 0, v[2:3]
	s_delay_alu instid0(VALU_DEP_2) | instskip(SKIP_2) | instid1(SALU_CYCLE_1)
	v_cmp_neq_f64_e64 s2, 1.0, v[4:5]
	s_mov_b64 s[18:19], 0
	s_or_b32 s2, vcc_lo, s2
	s_and_saveexec_b32 s3, s2
	s_cbranch_execz .LBB5_52
; %bb.5:
	s_clause 0x1
	s_load_b128 s[8:11], s[0:1], 0x8
	s_load_b64 s[2:3], s[0:1], 0x30
	s_bfe_u32 s4, ttmp6, 0x4000c
	s_and_b32 s5, ttmp6, 15
	s_add_co_i32 s4, s4, 1
	s_getreg_b32 s26, hwreg(HW_REG_IB_STS2, 6, 4)
	s_mul_i32 s4, ttmp9, s4
	s_delay_alu instid0(SALU_CYCLE_1)
	s_add_co_i32 s5, s5, s4
	s_cmp_eq_u32 s26, 0
	s_cselect_b32 s24, ttmp9, s5
	s_mov_b32 s5, 0
	s_ashr_i32 s25, s24, 31
	s_wait_kmcnt 0x0
	v_cmp_le_i64_e64 s4, s[8:9], s[24:25]
	v_cmp_gt_i64_e64 s8, s[8:9], s[24:25]
	s_and_b32 vcc_lo, exec_lo, s4
	s_cbranch_vccz .LBB5_8
; %bb.6:
	s_and_not1_b32 vcc_lo, exec_lo, s8
	s_mov_b64 s[20:21], 0
	s_cbranch_vccz .LBB5_9
.LBB5_7:
	s_load_b64 s[22:23], s[0:1], 0x48
	s_wait_kmcnt 0x0
	v_cmp_lt_i64_e64 s2, s[22:23], 1
	s_and_b32 vcc_lo, exec_lo, s2
	s_cbranch_vccz .LBB5_10
	s_branch .LBB5_52
.LBB5_8:
	s_lshl_b64 s[6:7], s[24:25], 3
	s_mov_b32 s4, s17
	s_add_nc_u64 s[6:7], s[2:3], s[6:7]
	s_load_b64 s[6:7], s[6:7], 0x0
	s_wait_kmcnt 0x0
	s_sub_nc_u64 s[18:19], s[6:7], s[4:5]
	s_and_not1_b32 vcc_lo, exec_lo, s8
	s_mov_b64 s[20:21], 0
	s_cbranch_vccnz .LBB5_7
.LBB5_9:
	s_lshl_b64 s[4:5], s[24:25], 3
	s_delay_alu instid0(SALU_CYCLE_1)
	s_add_nc_u64 s[2:3], s[2:3], s[4:5]
	s_mov_b32 s5, 0
	s_load_b64 s[2:3], s[2:3], 0x8
	s_mov_b32 s4, s17
	s_wait_kmcnt 0x0
	s_sub_nc_u64 s[20:21], s[2:3], s[4:5]
	s_load_b64 s[22:23], s[0:1], 0x48
	s_wait_kmcnt 0x0
	v_cmp_lt_i64_e64 s2, s[22:23], 1
	s_and_b32 vcc_lo, exec_lo, s2
	s_cbranch_vccnz .LBB5_52
.LBB5_10:
	s_clause 0x1
	s_load_b64 s[28:29], s[0:1], 0x0
	s_load_b128 s[4:7], s[0:1], 0x70
	s_bfe_u32 s2, ttmp6, 0x40010
	s_load_b128 s[12:15], s[0:1], 0x50
	s_add_co_i32 s2, s2, 1
	s_bfe_u32 s3, ttmp6, 0x40004
	s_mul_i32 s2, ttmp7, s2
	v_bfe_u32 v6, v0, 10, 10
	s_add_co_i32 s3, s3, s2
	s_cmp_eq_u32 s26, 0
	v_and_b32_e32 v0, 0x3ff, v0
	s_cselect_b32 s2, ttmp7, s3
	v_mov_b32_e32 v11, 0
	v_lshl_add_u32 v10, s2, 5, v6
	s_mov_b64 s[26:27], 0xffffffff
	v_dual_lshlrev_b32 v8, 3, v0 :: v_dual_lshlrev_b32 v40, 8, v6
	s_delay_alu instid0(VALU_DEP_3) | instskip(NEXT) | instid1(VALU_DEP_3)
	v_mov_b32_e32 v1, v11
	v_cmp_gt_i64_e64 s2, s[10:11], v[10:11]
	v_lshlrev_b64_e32 v[12:13], 3, v[10:11]
	s_wait_kmcnt 0x0
	s_bitcmp1_b32 s28, 0
	v_mul_u64_e32 v[14:15], s[6:7], v[10:11]
	s_cselect_b32 s3, -1, 0
	s_and_b64 s[26:27], s[24:25], s[26:27]
	s_xor_b32 s3, s3, -1
	s_cmp_lg_u32 s29, 0
	v_mul_u64_e32 v[16:17], s[14:15], v[10:11]
	s_cselect_b32 s33, -1, 0
	s_and_b32 s36, s8, s2
	v_dual_mov_b32 v9, v11 :: v_dual_lshlrev_b32 v10, 3, v6
	s_cmp_lg_u32 s16, 1
	s_mul_u64 s[8:9], s[18:19], s[22:23]
	s_cselect_b32 s37, -1, 0
	s_lshl_b64 s[8:9], s[8:9], 3
	v_cmp_lt_i64_e64 s38, s[18:19], s[20:21]
	v_add_nc_u64_e32 v[18:19], s[8:9], v[8:9]
	v_add_nc_u64_e32 v[20:21], s[8:9], v[10:11]
	s_load_b128 s[8:11], s[0:1], 0x38
	s_wait_xcnt 0x0
	v_cmp_neq_f64_e64 s0, 0, v[4:5]
	v_dual_mov_b32 v7, v11 :: v_dual_add_nc_u32 v41, v8, v40
	v_add_nc_u32_e32 v43, 0x1000, v8
	v_mad_nc_u64_u32 v[22:23], s22, v18, v[10:11]
	v_mad_nc_u64_u32 v[24:25], s22, v20, v[8:9]
	v_add_nc_u32_e32 v44, 0x1800, v8
	s_mov_b32 s25, 0
	s_mov_b32 s24, s17
	s_mov_b64 s[16:17], 0
	s_mul_u64 s[26:27], s[22:23], s[26:27]
	s_lshl_b64 s[28:29], s[22:23], 3
	s_lshl_b64 s[30:31], s[14:15], 3
	;; [unrolled: 1-line block ×3, first 2 shown]
	v_lshl_add_u64 v[14:15], v[14:15], 3, s[4:5]
	v_mad_u32 v10, s23, v18, v23
	v_mad_u32 v18, s23, v20, v25
	v_or_b32_e32 v20, 0x2000, v8
	v_lshl_add_u64 v[16:17], v[16:17], 3, v[8:9]
	v_add_nc_u32_e32 v9, 0x800, v8
	s_delay_alu instid0(VALU_DEP_3) | instskip(NEXT) | instid1(VALU_DEP_3)
	v_add_nc_u32_e32 v42, v20, v40
	v_add_nc_u64_e32 v[16:17], s[12:13], v[16:17]
	v_mad_u32 v23, s22, v19, v10
	v_mad_u32 v25, s22, v21, v18
	v_add_nc_u64_e32 v[10:11], s[4:5], v[12:13]
	v_add_nc_u64_e32 v[12:13], s[12:13], v[12:13]
	s_lshl_b64 s[4:5], s[22:23], 8
	s_wait_kmcnt 0x0
	s_delay_alu instid0(VALU_DEP_4) | instskip(NEXT) | instid1(VALU_DEP_4)
	v_add_nc_u64_e32 v[18:19], s[10:11], v[22:23]
	v_add_nc_u64_e32 v[20:21], s[10:11], v[24:25]
	s_mul_u64 s[10:11], s[22:23], s[22:23]
	s_delay_alu instid0(SALU_CYCLE_1)
	s_lshl_b64 s[10:11], s[10:11], 3
	s_branch .LBB5_12
.LBB5_11:                               ;   in Loop: Header=BB5_12 Depth=1
	s_wait_xcnt 0x0
	s_or_b32 exec_lo, exec_lo, s1
	s_add_nc_u64 s[16:17], s[16:17], 32
	v_add_nc_u64_e32 v[18:19], s[4:5], v[18:19]
	v_cmp_lt_i64_e64 s1, s[16:17], s[22:23]
	v_add_nc_u64_e32 v[20:21], 0x100, v[20:21]
	s_and_b32 vcc_lo, exec_lo, s1
	s_cbranch_vccz .LBB5_52
.LBB5_12:                               ; =>This Loop Header: Depth=1
                                        ;     Child Loop BB5_15 Depth 2
                                        ;       Child Loop BB5_19 Depth 3
	v_add_nc_u64_e32 v[24:25], s[16:17], v[0:1]
	v_mov_b64_e32 v[22:23], 0
	s_and_not1_b32 vcc_lo, exec_lo, s38
	s_delay_alu instid0(VALU_DEP_2)
	v_cmp_gt_i64_e64 s1, s[22:23], v[24:25]
	s_cbranch_vccnz .LBB5_41
; %bb.13:                               ;   in Loop: Header=BB5_12 Depth=1
	v_mov_b64_e32 v[22:23], 0
	v_mov_b64_e32 v[26:27], v[20:21]
	;; [unrolled: 1-line block ×3, first 2 shown]
	s_mov_b64 s[12:13], s[18:19]
	s_branch .LBB5_15
.LBB5_14:                               ;   in Loop: Header=BB5_15 Depth=2
	s_add_nc_u64 s[12:13], s[12:13], 1
	v_add_nc_u64_e32 v[28:29], s[10:11], v[28:29]
	v_cmp_ge_i64_e64 s34, s[12:13], s[20:21]
	v_add_nc_u64_e32 v[26:27], s[10:11], v[26:27]
	s_and_b32 vcc_lo, exec_lo, s34
	s_cbranch_vccnz .LBB5_41
.LBB5_15:                               ;   Parent Loop BB5_12 Depth=1
                                        ; =>  This Loop Header: Depth=2
                                        ;       Child Loop BB5_19 Depth 3
	s_lshl_b64 s[34:35], s[12:13], 3
	s_delay_alu instid0(VALU_DEP_1)
	v_mov_b64_e32 v[36:37], v[28:29]
	s_add_nc_u64 s[34:35], s[8:9], s[34:35]
	s_load_b64 s[34:35], s[34:35], 0x0
	s_wait_kmcnt 0x0
	s_wait_xcnt 0x0
	s_sub_nc_u64 s[34:35], s[34:35], s[24:25]
	s_delay_alu instid0(SALU_CYCLE_1)
	v_mad_nc_u64_u32 v[34:35], s34, s22, v[0:1]
	s_mul_i32 s39, s35, s22
	s_mul_i32 s40, s34, s23
	v_mad_nc_u64_u32 v[32:33], s28, s34, v[16:17]
	s_mul_i32 s34, s29, s34
	s_mul_i32 s35, s28, s35
	s_delay_alu instid0(VALU_DEP_2) | instskip(NEXT) | instid1(VALU_DEP_2)
	v_mad_nc_u64_u32 v[30:31], s30, v34, v[12:13]
	v_add3_u32 v33, s35, s34, v33
	s_mov_b64 s[34:35], 0
	s_delay_alu instid0(VALU_DEP_2) | instskip(SKIP_1) | instid1(VALU_DEP_1)
	v_mad_u32 v31, s31, v34, v31
	v_add3_u32 v34, s40, s39, v35
	v_mad_u32 v31, s30, v34, v31
	v_mov_b64_e32 v[34:35], v[26:27]
	s_branch .LBB5_19
.LBB5_16:                               ;   in Loop: Header=BB5_19 Depth=3
	s_wait_xcnt 0x0
	s_or_b32 exec_lo, exec_lo, s40
.LBB5_17:                               ;   in Loop: Header=BB5_19 Depth=3
	s_delay_alu instid0(SALU_CYCLE_1)
	s_or_b32 exec_lo, exec_lo, s39
.LBB5_18:                               ;   in Loop: Header=BB5_19 Depth=3
	s_wait_loadcnt 0x0
	ds_store_b64 v41, v[38:39]
	s_wait_dscnt 0x0
	s_barrier_signal -1
	s_barrier_wait -1
	ds_load_2addr_b64 v[46:49], v8 offset1:32
	ds_load_b128 v[50:53], v40 offset:8192
	ds_load_b128 v[54:57], v40 offset:8208
	s_add_nc_u64 s[34:35], s[34:35], 32
	v_add_nc_u64_e32 v[32:33], 0x100, v[32:33]
	v_cmp_ge_i64_e64 s39, s[34:35], s[22:23]
	v_add_nc_u64_e32 v[30:31], s[14:15], v[30:31]
	v_add_nc_u64_e32 v[36:37], 0x100, v[36:37]
	;; [unrolled: 1-line block ×3, first 2 shown]
	s_and_b32 vcc_lo, exec_lo, s39
	s_wait_dscnt 0x1
	v_fmac_f64_e32 v[22:23], v[46:47], v[50:51]
	s_delay_alu instid0(VALU_DEP_1) | instskip(SKIP_3) | instid1(VALU_DEP_1)
	v_fmac_f64_e32 v[22:23], v[48:49], v[52:53]
	ds_load_2addr_b64 v[46:49], v8 offset0:64 offset1:96
	s_wait_dscnt 0x0
	v_fmac_f64_e32 v[22:23], v[46:47], v[54:55]
	v_fmac_f64_e32 v[22:23], v[48:49], v[56:57]
	ds_load_2addr_b64 v[46:49], v8 offset0:128 offset1:160
	ds_load_b128 v[50:53], v40 offset:8224
	ds_load_b128 v[54:57], v40 offset:8240
	s_wait_dscnt 0x1
	v_fmac_f64_e32 v[22:23], v[46:47], v[50:51]
	s_delay_alu instid0(VALU_DEP_1) | instskip(SKIP_3) | instid1(VALU_DEP_1)
	v_fmac_f64_e32 v[22:23], v[48:49], v[52:53]
	ds_load_2addr_b64 v[46:49], v8 offset0:192 offset1:224
	s_wait_dscnt 0x0
	v_fmac_f64_e32 v[22:23], v[46:47], v[54:55]
	v_fmac_f64_e32 v[22:23], v[48:49], v[56:57]
	ds_load_2addr_b64 v[46:49], v9 offset1:32
	ds_load_b128 v[50:53], v40 offset:8256
	ds_load_b128 v[54:57], v40 offset:8272
	s_wait_dscnt 0x1
	v_fmac_f64_e32 v[22:23], v[46:47], v[50:51]
	s_delay_alu instid0(VALU_DEP_1) | instskip(SKIP_3) | instid1(VALU_DEP_1)
	v_fmac_f64_e32 v[22:23], v[48:49], v[52:53]
	ds_load_2addr_b64 v[46:49], v9 offset0:64 offset1:96
	s_wait_dscnt 0x0
	v_fmac_f64_e32 v[22:23], v[46:47], v[54:55]
	v_fmac_f64_e32 v[22:23], v[48:49], v[56:57]
	ds_load_2addr_b64 v[46:49], v9 offset0:128 offset1:160
	ds_load_b128 v[50:53], v40 offset:8288
	ds_load_b128 v[54:57], v40 offset:8304
	s_wait_dscnt 0x1
	v_fmac_f64_e32 v[22:23], v[46:47], v[50:51]
	s_delay_alu instid0(VALU_DEP_1) | instskip(SKIP_3) | instid1(VALU_DEP_1)
	v_fmac_f64_e32 v[22:23], v[48:49], v[52:53]
	ds_load_2addr_b64 v[46:49], v9 offset0:192 offset1:224
	s_wait_dscnt 0x0
	v_fmac_f64_e32 v[22:23], v[46:47], v[54:55]
	v_fmac_f64_e32 v[22:23], v[48:49], v[56:57]
	ds_load_2addr_b64 v[46:49], v43 offset1:32
	ds_load_b128 v[50:53], v40 offset:8320
	ds_load_b128 v[54:57], v40 offset:8336
	;; [unrolled: 22-line block ×3, first 2 shown]
	s_wait_dscnt 0x1
	v_fmac_f64_e32 v[22:23], v[46:47], v[50:51]
	s_delay_alu instid0(VALU_DEP_1) | instskip(SKIP_3) | instid1(VALU_DEP_1)
	v_fmac_f64_e32 v[22:23], v[48:49], v[52:53]
	ds_load_2addr_b64 v[46:49], v44 offset0:64 offset1:96
	s_wait_dscnt 0x0
	v_fmac_f64_e32 v[22:23], v[46:47], v[54:55]
	v_fmac_f64_e32 v[22:23], v[48:49], v[56:57]
	ds_load_2addr_b64 v[46:49], v44 offset0:128 offset1:160
	ds_load_b128 v[50:53], v40 offset:8416
	ds_load_b128 v[54:57], v40 offset:8432
	s_wait_dscnt 0x1
	v_fmac_f64_e32 v[22:23], v[46:47], v[50:51]
	s_delay_alu instid0(VALU_DEP_1)
	v_fmac_f64_e32 v[22:23], v[48:49], v[52:53]
	ds_load_2addr_b64 v[46:49], v44 offset0:192 offset1:224
	s_wait_dscnt 0x0
	s_barrier_signal -1
	s_barrier_wait -1
	v_fmac_f64_e32 v[22:23], v[46:47], v[54:55]
	s_delay_alu instid0(VALU_DEP_1)
	v_fmac_f64_e32 v[22:23], v[48:49], v[56:57]
	s_cbranch_vccnz .LBB5_14
.LBB5_19:                               ;   Parent Loop BB5_12 Depth=1
                                        ;     Parent Loop BB5_15 Depth=2
                                        ; =>    This Inner Loop Header: Depth=3
	s_and_b32 vcc_lo, exec_lo, s3
	s_mov_b32 s39, -1
                                        ; implicit-def: $vgpr38_vgpr39
	s_cbranch_vccnz .LBB5_27
; %bb.20:                               ;   in Loop: Header=BB5_19 Depth=3
	s_and_not1_b32 vcc_lo, exec_lo, s39
	s_cbranch_vccz .LBB5_32
.LBB5_21:                               ;   in Loop: Header=BB5_19 Depth=3
	s_and_b32 vcc_lo, exec_lo, s33
	s_wait_loadcnt 0x0
	ds_store_b64 v42, v[38:39]
	s_cbranch_vccz .LBB5_37
.LBB5_22:                               ;   in Loop: Header=BB5_19 Depth=3
	v_mov_b64_e32 v[38:39], 0
	s_and_saveexec_b32 s39, s1
	s_cbranch_execz .LBB5_26
; %bb.23:                               ;   in Loop: Header=BB5_19 Depth=3
	v_add_nc_u64_e32 v[38:39], s[34:35], v[6:7]
	s_delay_alu instid0(VALU_DEP_1)
	v_cmp_gt_i64_e32 vcc_lo, s[22:23], v[38:39]
	v_mov_b64_e32 v[38:39], 0
	s_and_saveexec_b32 s40, vcc_lo
	s_cbranch_execz .LBB5_25
; %bb.24:                               ;   in Loop: Header=BB5_19 Depth=3
	global_load_b64 v[38:39], v[34:35], off
.LBB5_25:                               ;   in Loop: Header=BB5_19 Depth=3
	s_wait_xcnt 0x0
	s_or_b32 exec_lo, exec_lo, s40
.LBB5_26:                               ;   in Loop: Header=BB5_19 Depth=3
	s_delay_alu instid0(SALU_CYCLE_1)
	s_or_b32 exec_lo, exec_lo, s39
	s_cbranch_execnz .LBB5_18
	s_branch .LBB5_38
.LBB5_27:                               ;   in Loop: Header=BB5_19 Depth=3
	v_mov_b64_e32 v[38:39], 0
	s_and_saveexec_b32 s39, s2
	s_cbranch_execz .LBB5_31
; %bb.28:                               ;   in Loop: Header=BB5_19 Depth=3
	v_add_nc_u64_e32 v[38:39], s[34:35], v[0:1]
	s_delay_alu instid0(VALU_DEP_1)
	v_cmp_gt_i64_e32 vcc_lo, s[22:23], v[38:39]
	v_mov_b64_e32 v[38:39], 0
	s_and_saveexec_b32 s40, vcc_lo
	s_cbranch_execz .LBB5_30
; %bb.29:                               ;   in Loop: Header=BB5_19 Depth=3
	global_load_b64 v[38:39], v[30:31], off
.LBB5_30:                               ;   in Loop: Header=BB5_19 Depth=3
	s_wait_xcnt 0x0
	s_or_b32 exec_lo, exec_lo, s40
.LBB5_31:                               ;   in Loop: Header=BB5_19 Depth=3
	s_delay_alu instid0(SALU_CYCLE_1)
	s_or_b32 exec_lo, exec_lo, s39
	s_cbranch_execnz .LBB5_21
.LBB5_32:                               ;   in Loop: Header=BB5_19 Depth=3
	s_wait_loadcnt 0x0
	v_mov_b64_e32 v[38:39], 0
	s_and_saveexec_b32 s39, s2
	s_cbranch_execz .LBB5_36
; %bb.33:                               ;   in Loop: Header=BB5_19 Depth=3
	v_add_nc_u64_e32 v[38:39], s[34:35], v[0:1]
	s_delay_alu instid0(VALU_DEP_1)
	v_cmp_gt_i64_e32 vcc_lo, s[22:23], v[38:39]
	v_mov_b64_e32 v[38:39], 0
	s_and_saveexec_b32 s40, vcc_lo
	s_cbranch_execz .LBB5_35
; %bb.34:                               ;   in Loop: Header=BB5_19 Depth=3
	global_load_b64 v[38:39], v[32:33], off
.LBB5_35:                               ;   in Loop: Header=BB5_19 Depth=3
	s_wait_xcnt 0x0
	s_or_b32 exec_lo, exec_lo, s40
.LBB5_36:                               ;   in Loop: Header=BB5_19 Depth=3
	s_delay_alu instid0(SALU_CYCLE_1) | instskip(NEXT) | instid1(SALU_CYCLE_1)
	s_or_b32 exec_lo, exec_lo, s39
	s_and_b32 vcc_lo, exec_lo, s33
	s_wait_loadcnt 0x0
	ds_store_b64 v42, v[38:39]
	s_cbranch_vccnz .LBB5_22
.LBB5_37:                               ;   in Loop: Header=BB5_19 Depth=3
                                        ; implicit-def: $vgpr38_vgpr39
.LBB5_38:                               ;   in Loop: Header=BB5_19 Depth=3
	s_wait_loadcnt 0x0
	v_mov_b64_e32 v[38:39], 0
	s_and_saveexec_b32 s39, s1
	s_cbranch_execz .LBB5_17
; %bb.39:                               ;   in Loop: Header=BB5_19 Depth=3
	v_add_nc_u64_e32 v[38:39], s[34:35], v[6:7]
	s_delay_alu instid0(VALU_DEP_1)
	v_cmp_gt_i64_e32 vcc_lo, s[22:23], v[38:39]
	v_mov_b64_e32 v[38:39], 0
	s_and_saveexec_b32 s40, vcc_lo
	s_cbranch_execz .LBB5_16
; %bb.40:                               ;   in Loop: Header=BB5_19 Depth=3
	global_load_b64 v[38:39], v[36:37], off
	s_branch .LBB5_16
.LBB5_41:                               ;   in Loop: Header=BB5_12 Depth=1
	v_cmp_gt_i64_e32 vcc_lo, s[22:23], v[24:25]
	s_and_b32 s12, s36, vcc_lo
	s_delay_alu instid0(SALU_CYCLE_1)
	s_and_saveexec_b32 s1, s12
	s_cbranch_execz .LBB5_11
; %bb.42:                               ;   in Loop: Header=BB5_12 Depth=1
	v_add_nc_u64_e32 v[24:25], s[26:27], v[24:25]
	s_and_saveexec_b32 s12, s0
	s_delay_alu instid0(SALU_CYCLE_1)
	s_xor_b32 s12, exec_lo, s12
	s_cbranch_execz .LBB5_47
; %bb.43:                               ;   in Loop: Header=BB5_12 Depth=1
	s_and_b32 vcc_lo, exec_lo, s37
	s_mov_b32 s13, -1
	s_cbranch_vccz .LBB5_45
; %bb.44:                               ;   in Loop: Header=BB5_12 Depth=1
	v_mul_u64_e32 v[26:27], s[6:7], v[24:25]
	v_mul_f64_e32 v[30:31], v[2:3], v[22:23]
	s_mov_b32 s13, 0
	s_delay_alu instid0(VALU_DEP_2)
	v_lshl_add_u64 v[26:27], v[26:27], 3, v[10:11]
	global_load_b64 v[28:29], v[26:27], off
	s_wait_loadcnt 0x0
	v_fmac_f64_e32 v[30:31], v[4:5], v[28:29]
	global_store_b64 v[26:27], v[30:31], off
.LBB5_45:                               ;   in Loop: Header=BB5_12 Depth=1
	s_and_not1_b32 vcc_lo, exec_lo, s13
	s_cbranch_vccnz .LBB5_47
; %bb.46:                               ;   in Loop: Header=BB5_12 Depth=1
	v_lshl_add_u64 v[24:25], v[24:25], 3, v[14:15]
	v_mul_f64_e32 v[22:23], v[2:3], v[22:23]
	global_load_b64 v[26:27], v[24:25], off
	s_wait_loadcnt 0x0
	v_fmac_f64_e32 v[22:23], v[4:5], v[26:27]
	global_store_b64 v[24:25], v[22:23], off
                                        ; implicit-def: $vgpr24_vgpr25
                                        ; implicit-def: $vgpr22_vgpr23
.LBB5_47:                               ;   in Loop: Header=BB5_12 Depth=1
	s_wait_xcnt 0x0
	s_and_not1_saveexec_b32 s12, s12
	s_cbranch_execz .LBB5_11
; %bb.48:                               ;   in Loop: Header=BB5_12 Depth=1
	v_mul_f64_e32 v[22:23], v[2:3], v[22:23]
	s_and_b32 vcc_lo, exec_lo, s37
	s_mov_b32 s12, -1
	s_cbranch_vccz .LBB5_50
; %bb.49:                               ;   in Loop: Header=BB5_12 Depth=1
	v_mul_u64_e32 v[26:27], s[6:7], v[24:25]
	s_mov_b32 s12, 0
	s_delay_alu instid0(VALU_DEP_1)
	v_lshl_add_u64 v[26:27], v[26:27], 3, v[10:11]
	global_store_b64 v[26:27], v[22:23], off
.LBB5_50:                               ;   in Loop: Header=BB5_12 Depth=1
	s_and_not1_b32 vcc_lo, exec_lo, s12
	s_cbranch_vccnz .LBB5_11
; %bb.51:                               ;   in Loop: Header=BB5_12 Depth=1
	v_lshl_add_u64 v[24:25], v[24:25], 3, v[14:15]
	global_store_b64 v[24:25], v[22:23], off
	s_branch .LBB5_11
.LBB5_52:
	s_endpgm
	.section	.rodata,"a",@progbits
	.p2align	6, 0x0
	.amdhsa_kernel _ZN9rocsparseL29bsrmm_general_blockdim_kernelILj32ELj32EllddddEEvb20rocsparse_direction_T2_S2_llNS_24const_host_device_scalarIT6_EEPKT1_PKS2_PKT3_S2_PKT4_llS5_PT5_ll16rocsparse_order_21rocsparse_index_base_b
		.amdhsa_group_segment_fixed_size 16384
		.amdhsa_private_segment_fixed_size 0
		.amdhsa_kernarg_size 148
		.amdhsa_user_sgpr_count 2
		.amdhsa_user_sgpr_dispatch_ptr 0
		.amdhsa_user_sgpr_queue_ptr 0
		.amdhsa_user_sgpr_kernarg_segment_ptr 1
		.amdhsa_user_sgpr_dispatch_id 0
		.amdhsa_user_sgpr_kernarg_preload_length 0
		.amdhsa_user_sgpr_kernarg_preload_offset 0
		.amdhsa_user_sgpr_private_segment_size 0
		.amdhsa_wavefront_size32 1
		.amdhsa_uses_dynamic_stack 0
		.amdhsa_enable_private_segment 0
		.amdhsa_system_sgpr_workgroup_id_x 1
		.amdhsa_system_sgpr_workgroup_id_y 1
		.amdhsa_system_sgpr_workgroup_id_z 0
		.amdhsa_system_sgpr_workgroup_info 0
		.amdhsa_system_vgpr_workitem_id 1
		.amdhsa_next_free_vgpr 58
		.amdhsa_next_free_sgpr 41
		.amdhsa_named_barrier_count 0
		.amdhsa_reserve_vcc 1
		.amdhsa_float_round_mode_32 0
		.amdhsa_float_round_mode_16_64 0
		.amdhsa_float_denorm_mode_32 3
		.amdhsa_float_denorm_mode_16_64 3
		.amdhsa_fp16_overflow 0
		.amdhsa_memory_ordered 1
		.amdhsa_forward_progress 1
		.amdhsa_inst_pref_size 18
		.amdhsa_round_robin_scheduling 0
		.amdhsa_exception_fp_ieee_invalid_op 0
		.amdhsa_exception_fp_denorm_src 0
		.amdhsa_exception_fp_ieee_div_zero 0
		.amdhsa_exception_fp_ieee_overflow 0
		.amdhsa_exception_fp_ieee_underflow 0
		.amdhsa_exception_fp_ieee_inexact 0
		.amdhsa_exception_int_div_zero 0
	.end_amdhsa_kernel
	.section	.text._ZN9rocsparseL29bsrmm_general_blockdim_kernelILj32ELj32EllddddEEvb20rocsparse_direction_T2_S2_llNS_24const_host_device_scalarIT6_EEPKT1_PKS2_PKT3_S2_PKT4_llS5_PT5_ll16rocsparse_order_21rocsparse_index_base_b,"axG",@progbits,_ZN9rocsparseL29bsrmm_general_blockdim_kernelILj32ELj32EllddddEEvb20rocsparse_direction_T2_S2_llNS_24const_host_device_scalarIT6_EEPKT1_PKS2_PKT3_S2_PKT4_llS5_PT5_ll16rocsparse_order_21rocsparse_index_base_b,comdat
.Lfunc_end5:
	.size	_ZN9rocsparseL29bsrmm_general_blockdim_kernelILj32ELj32EllddddEEvb20rocsparse_direction_T2_S2_llNS_24const_host_device_scalarIT6_EEPKT1_PKS2_PKT3_S2_PKT4_llS5_PT5_ll16rocsparse_order_21rocsparse_index_base_b, .Lfunc_end5-_ZN9rocsparseL29bsrmm_general_blockdim_kernelILj32ELj32EllddddEEvb20rocsparse_direction_T2_S2_llNS_24const_host_device_scalarIT6_EEPKT1_PKS2_PKT3_S2_PKT4_llS5_PT5_ll16rocsparse_order_21rocsparse_index_base_b
                                        ; -- End function
	.set _ZN9rocsparseL29bsrmm_general_blockdim_kernelILj32ELj32EllddddEEvb20rocsparse_direction_T2_S2_llNS_24const_host_device_scalarIT6_EEPKT1_PKS2_PKT3_S2_PKT4_llS5_PT5_ll16rocsparse_order_21rocsparse_index_base_b.num_vgpr, 58
	.set _ZN9rocsparseL29bsrmm_general_blockdim_kernelILj32ELj32EllddddEEvb20rocsparse_direction_T2_S2_llNS_24const_host_device_scalarIT6_EEPKT1_PKS2_PKT3_S2_PKT4_llS5_PT5_ll16rocsparse_order_21rocsparse_index_base_b.num_agpr, 0
	.set _ZN9rocsparseL29bsrmm_general_blockdim_kernelILj32ELj32EllddddEEvb20rocsparse_direction_T2_S2_llNS_24const_host_device_scalarIT6_EEPKT1_PKS2_PKT3_S2_PKT4_llS5_PT5_ll16rocsparse_order_21rocsparse_index_base_b.numbered_sgpr, 41
	.set _ZN9rocsparseL29bsrmm_general_blockdim_kernelILj32ELj32EllddddEEvb20rocsparse_direction_T2_S2_llNS_24const_host_device_scalarIT6_EEPKT1_PKS2_PKT3_S2_PKT4_llS5_PT5_ll16rocsparse_order_21rocsparse_index_base_b.num_named_barrier, 0
	.set _ZN9rocsparseL29bsrmm_general_blockdim_kernelILj32ELj32EllddddEEvb20rocsparse_direction_T2_S2_llNS_24const_host_device_scalarIT6_EEPKT1_PKS2_PKT3_S2_PKT4_llS5_PT5_ll16rocsparse_order_21rocsparse_index_base_b.private_seg_size, 0
	.set _ZN9rocsparseL29bsrmm_general_blockdim_kernelILj32ELj32EllddddEEvb20rocsparse_direction_T2_S2_llNS_24const_host_device_scalarIT6_EEPKT1_PKS2_PKT3_S2_PKT4_llS5_PT5_ll16rocsparse_order_21rocsparse_index_base_b.uses_vcc, 1
	.set _ZN9rocsparseL29bsrmm_general_blockdim_kernelILj32ELj32EllddddEEvb20rocsparse_direction_T2_S2_llNS_24const_host_device_scalarIT6_EEPKT1_PKS2_PKT3_S2_PKT4_llS5_PT5_ll16rocsparse_order_21rocsparse_index_base_b.uses_flat_scratch, 0
	.set _ZN9rocsparseL29bsrmm_general_blockdim_kernelILj32ELj32EllddddEEvb20rocsparse_direction_T2_S2_llNS_24const_host_device_scalarIT6_EEPKT1_PKS2_PKT3_S2_PKT4_llS5_PT5_ll16rocsparse_order_21rocsparse_index_base_b.has_dyn_sized_stack, 0
	.set _ZN9rocsparseL29bsrmm_general_blockdim_kernelILj32ELj32EllddddEEvb20rocsparse_direction_T2_S2_llNS_24const_host_device_scalarIT6_EEPKT1_PKS2_PKT3_S2_PKT4_llS5_PT5_ll16rocsparse_order_21rocsparse_index_base_b.has_recursion, 0
	.set _ZN9rocsparseL29bsrmm_general_blockdim_kernelILj32ELj32EllddddEEvb20rocsparse_direction_T2_S2_llNS_24const_host_device_scalarIT6_EEPKT1_PKS2_PKT3_S2_PKT4_llS5_PT5_ll16rocsparse_order_21rocsparse_index_base_b.has_indirect_call, 0
	.section	.AMDGPU.csdata,"",@progbits
; Kernel info:
; codeLenInByte = 2216
; TotalNumSgprs: 43
; NumVgprs: 58
; ScratchSize: 0
; MemoryBound: 0
; FloatMode: 240
; IeeeMode: 1
; LDSByteSize: 16384 bytes/workgroup (compile time only)
; SGPRBlocks: 0
; VGPRBlocks: 3
; NumSGPRsForWavesPerEU: 43
; NumVGPRsForWavesPerEU: 58
; NamedBarCnt: 0
; Occupancy: 16
; WaveLimiterHint : 1
; COMPUTE_PGM_RSRC2:SCRATCH_EN: 0
; COMPUTE_PGM_RSRC2:USER_SGPR: 2
; COMPUTE_PGM_RSRC2:TRAP_HANDLER: 0
; COMPUTE_PGM_RSRC2:TGID_X_EN: 1
; COMPUTE_PGM_RSRC2:TGID_Y_EN: 1
; COMPUTE_PGM_RSRC2:TGID_Z_EN: 0
; COMPUTE_PGM_RSRC2:TIDIG_COMP_CNT: 1
	.section	.text._ZN9rocsparseL29bsrmm_general_blockdim_kernelILj32ELj32Eii21rocsparse_complex_numIfES2_S2_S2_EEvb20rocsparse_direction_T2_S4_llNS_24const_host_device_scalarIT6_EEPKT1_PKS4_PKT3_S4_PKT4_llS7_PT5_ll16rocsparse_order_21rocsparse_index_base_b,"axG",@progbits,_ZN9rocsparseL29bsrmm_general_blockdim_kernelILj32ELj32Eii21rocsparse_complex_numIfES2_S2_S2_EEvb20rocsparse_direction_T2_S4_llNS_24const_host_device_scalarIT6_EEPKT1_PKS4_PKT3_S4_PKT4_llS7_PT5_ll16rocsparse_order_21rocsparse_index_base_b,comdat
	.globl	_ZN9rocsparseL29bsrmm_general_blockdim_kernelILj32ELj32Eii21rocsparse_complex_numIfES2_S2_S2_EEvb20rocsparse_direction_T2_S4_llNS_24const_host_device_scalarIT6_EEPKT1_PKS4_PKT3_S4_PKT4_llS7_PT5_ll16rocsparse_order_21rocsparse_index_base_b ; -- Begin function _ZN9rocsparseL29bsrmm_general_blockdim_kernelILj32ELj32Eii21rocsparse_complex_numIfES2_S2_S2_EEvb20rocsparse_direction_T2_S4_llNS_24const_host_device_scalarIT6_EEPKT1_PKS4_PKT3_S4_PKT4_llS7_PT5_ll16rocsparse_order_21rocsparse_index_base_b
	.p2align	8
	.type	_ZN9rocsparseL29bsrmm_general_blockdim_kernelILj32ELj32Eii21rocsparse_complex_numIfES2_S2_S2_EEvb20rocsparse_direction_T2_S4_llNS_24const_host_device_scalarIT6_EEPKT1_PKS4_PKT3_S4_PKT4_llS7_PT5_ll16rocsparse_order_21rocsparse_index_base_b,@function
_ZN9rocsparseL29bsrmm_general_blockdim_kernelILj32ELj32Eii21rocsparse_complex_numIfES2_S2_S2_EEvb20rocsparse_direction_T2_S4_llNS_24const_host_device_scalarIT6_EEPKT1_PKS4_PKT3_S4_PKT4_llS7_PT5_ll16rocsparse_order_21rocsparse_index_base_b: ; @_ZN9rocsparseL29bsrmm_general_blockdim_kernelILj32ELj32Eii21rocsparse_complex_numIfES2_S2_S2_EEvb20rocsparse_direction_T2_S4_llNS_24const_host_device_scalarIT6_EEPKT1_PKS4_PKT3_S4_PKT4_llS7_PT5_ll16rocsparse_order_21rocsparse_index_base_b
; %bb.0:
	s_clause 0x2
	s_load_b96 s[20:22], s[0:1], 0x80
	s_load_b64 s[2:3], s[0:1], 0x20
	s_load_b64 s[4:5], s[0:1], 0x60
	v_mov_b32_e32 v1, 0
	s_add_nc_u64 s[6:7], s[0:1], 32
	s_add_nc_u64 s[8:9], s[0:1], 0x60
	s_mov_b32 s24, 0
	s_wait_kmcnt 0x0
	s_bitcmp1_b32 s22, 0
	s_cselect_b32 s3, s7, s3
	s_cselect_b32 s2, s6, s2
	;; [unrolled: 1-line block ×4, first 2 shown]
	s_clause 0x1
	flat_load_b64 v[2:3], v1, s[2:3]
	flat_load_b64 v[4:5], v1, s[4:5]
	s_wait_loadcnt_dscnt 0x101
	v_cmp_eq_f32_e32 vcc_lo, 0, v2
	v_cmp_eq_f32_e64 s3, 0, v3
	s_wait_loadcnt_dscnt 0x0
	v_cmp_eq_f32_e64 s4, 1.0, v4
	v_cmp_eq_f32_e64 s2, 0, v5
	s_and_b32 s3, vcc_lo, s3
	s_and_b32 s4, s4, s2
	s_delay_alu instid0(SALU_CYCLE_1) | instskip(NEXT) | instid1(SALU_CYCLE_1)
	s_and_b32 s3, s3, s4
	s_xor_b32 s3, s3, -1
	s_delay_alu instid0(SALU_CYCLE_1)
	s_and_saveexec_b32 s4, s3
	s_cbranch_execz .LBB6_52
; %bb.1:
	s_clause 0x1
	s_load_b128 s[16:19], s[0:1], 0x0
	s_load_b64 s[4:5], s[0:1], 0x28
	s_bfe_u32 s3, ttmp6, 0x4000c
	s_and_b32 s6, ttmp6, 15
	s_add_co_i32 s3, s3, 1
	s_getreg_b32 s12, hwreg(HW_REG_IB_STS2, 6, 4)
	s_mul_i32 s3, ttmp9, s3
	s_delay_alu instid0(SALU_CYCLE_1)
	s_add_co_i32 s6, s6, s3
	s_cmp_eq_u32 s12, 0
	s_cselect_b32 s22, ttmp9, s6
	s_wait_kmcnt 0x0
	s_cmp_lt_i32 s22, s18
	s_cselect_b32 s3, -1, 0
	s_cmp_ge_i32 s22, s18
	s_cbranch_scc0 .LBB6_4
; %bb.2:
	s_and_not1_b32 vcc_lo, exec_lo, s3
	s_mov_b32 s18, 0
	s_cbranch_vccz .LBB6_5
.LBB6_3:
	s_load_b32 s23, s[0:1], 0x40
	s_wait_kmcnt 0x0
	s_cmp_lt_i32 s23, 1
	s_cbranch_scc0 .LBB6_6
	s_branch .LBB6_52
.LBB6_4:
	s_ashr_i32 s23, s22, 31
	s_delay_alu instid0(SALU_CYCLE_1) | instskip(NEXT) | instid1(SALU_CYCLE_1)
	s_lshl_b64 s[6:7], s[22:23], 2
	s_add_nc_u64 s[6:7], s[4:5], s[6:7]
	s_load_b32 s6, s[6:7], 0x0
	s_wait_kmcnt 0x0
	s_sub_co_i32 s24, s6, s21
	s_and_not1_b32 vcc_lo, exec_lo, s3
	s_mov_b32 s18, 0
	s_cbranch_vccnz .LBB6_3
.LBB6_5:
	s_ashr_i32 s23, s22, 31
	s_delay_alu instid0(SALU_CYCLE_1) | instskip(NEXT) | instid1(SALU_CYCLE_1)
	s_lshl_b64 s[6:7], s[22:23], 2
	s_add_nc_u64 s[4:5], s[4:5], s[6:7]
	s_load_b32 s4, s[4:5], 0x4
	s_wait_kmcnt 0x0
	s_sub_co_i32 s18, s4, s21
	s_load_b32 s23, s[0:1], 0x40
	s_wait_kmcnt 0x0
	s_cmp_lt_i32 s23, 1
	s_cbranch_scc1 .LBB6_52
.LBB6_6:
	s_bitcmp1_b32 s16, 0
	s_load_b128 s[4:7], s[0:1], 0x68
	s_cselect_b32 s13, -1, 0
	s_bfe_u32 s14, ttmp6, 0x40010
	s_load_b128 s[8:11], s[0:1], 0x48
	s_add_co_i32 s14, s14, 1
	s_bfe_u32 s15, ttmp6, 0x40004
	s_mul_i32 s14, ttmp7, s14
	v_bfe_u32 v22, v0, 10, 10
	s_xor_b32 s16, s13, -1
	s_add_co_i32 s15, s15, s14
	s_cmp_eq_u32 s12, 0
	v_and_b32_e32 v23, 0x3ff, v0
	s_cselect_b32 s12, ttmp7, s15
	s_cmp_lt_i32 s24, s18
	v_lshl_add_u32 v8, s12, 5, v22
	s_load_b128 s[12:15], s[0:1], 0x30
	v_mad_u32 v16, s24, s23, v23
	v_lshlrev_b32_e32 v24, 3, v23
	v_cmp_neq_f32_e32 vcc_lo, 0, v4
	v_dual_ashrrev_i32 v9, 31, v8 :: v_dual_lshlrev_b32 v25, 8, v22
	v_mov_b32_e32 v1, v2
	s_delay_alu instid0(VALU_DEP_4)
	v_or_b32_e32 v17, 0x2000, v24
	s_wait_xcnt 0x0
	v_cmp_gt_i32_e64 s0, s19, v8
	s_wait_kmcnt 0x0
	v_mul_u64_e32 v[12:13], s[10:11], v[8:9]
	v_mul_u64_e32 v[14:15], s[6:7], v[8:9]
	v_lshlrev_b64_e32 v[10:11], 3, v[8:9]
	v_mad_u32 v30, s23, v16, v22
	s_cselect_b32 s26, -1, 0
	s_cmp_lg_u32 s17, 0
	v_xor_b32_e32 v0, 0x80000000, v3
	s_cselect_b32 s17, -1, 0
	s_xor_b32 s1, s2, -1
	v_add_nc_u64_e32 v[8:9], s[8:9], v[10:11]
	v_add_nc_u64_e32 v[10:11], s[4:5], v[10:11]
	v_xor_b32_e32 v6, 0x80000000, v5
	v_dual_mov_b32 v7, v4 :: v_dual_add_nc_u32 v28, 0x1000, v24
	v_dual_add_nc_u32 v26, v24, v25 :: v_dual_add_nc_u32 v29, v17, v25
	v_add_nc_u32_e32 v27, 0x800, v24
	s_or_b32 s19, vcc_lo, s1
	s_and_b32 s27, s3, s0
	v_add_nc_u32_e32 v31, 0x1800, v24
	s_cmp_lg_u32 s20, 1
	s_mov_b32 s25, 0
	s_mul_i32 s22, s23, s22
	v_lshl_add_u64 v[12:13], v[12:13], 3, s[8:9]
	v_lshl_add_u64 v[14:15], v[14:15], 3, s[4:5]
	s_cselect_b32 s4, -1, 0
	s_lshl_b32 s5, s23, 5
	s_mul_i32 s8, s23, s23
	s_branch .LBB6_8
.LBB6_7:                                ;   in Loop: Header=BB6_8 Depth=1
	s_wait_xcnt 0x0
	s_or_b32 exec_lo, exec_lo, s1
	v_add_nc_u32_e32 v30, s5, v30
	s_add_co_i32 s25, s25, 32
	s_delay_alu instid0(SALU_CYCLE_1)
	s_cmp_lt_i32 s25, s23
	s_cbranch_scc0 .LBB6_52
.LBB6_8:                                ; =>This Loop Header: Depth=1
                                        ;     Child Loop BB6_11 Depth 2
                                        ;       Child Loop BB6_13 Depth 3
	v_dual_mov_b32 v17, 0 :: v_dual_add_nc_u32 v32, s25, v23
	s_and_not1_b32 vcc_lo, exec_lo, s26
	s_delay_alu instid0(VALU_DEP_1) | instskip(NEXT) | instid1(VALU_DEP_2)
	v_cmp_gt_i32_e64 s1, s23, v32
	v_mov_b32_e32 v16, v17
	s_cbranch_vccnz .LBB6_41
; %bb.9:                                ;   in Loop: Header=BB6_8 Depth=1
	v_mov_b64_e32 v[16:17], 0
	v_mov_b32_e32 v33, v30
	s_mov_b32 s2, s24
	s_branch .LBB6_11
.LBB6_10:                               ;   in Loop: Header=BB6_11 Depth=2
	v_add_nc_u32_e32 v33, s8, v33
	s_add_co_i32 s2, s2, 1
	s_delay_alu instid0(SALU_CYCLE_1)
	s_cmp_ge_i32 s2, s18
	s_cbranch_scc1 .LBB6_41
.LBB6_11:                               ;   Parent Loop BB6_8 Depth=1
                                        ; =>  This Loop Header: Depth=2
                                        ;       Child Loop BB6_13 Depth 3
	s_ashr_i32 s3, s2, 31
	s_mov_b32 s9, 0
	s_lshl_b64 s[28:29], s[2:3], 2
	s_delay_alu instid0(SALU_CYCLE_1) | instskip(SKIP_3) | instid1(SALU_CYCLE_1)
	s_add_nc_u64 s[28:29], s[12:13], s[28:29]
	s_load_b32 s3, s[28:29], 0x0
	s_wait_kmcnt 0x0
	s_sub_co_i32 s3, s3, s21
	v_mad_u32 v34, s3, s23, v23
	s_mul_i32 s3, s2, s23
	s_branch .LBB6_13
.LBB6_12:                               ;   in Loop: Header=BB6_13 Depth=3
	s_wait_xcnt 0x0
	s_or_b32 exec_lo, exec_lo, s28
	s_wait_loadcnt 0x0
	ds_store_b64 v26, v[18:19]
	s_wait_dscnt 0x0
	s_barrier_signal -1
	s_barrier_wait -1
	ds_load_2addr_b64 v[18:21], v24 offset1:32
	ds_load_b128 v[36:39], v25 offset:8192
	ds_load_b128 v[40:43], v25 offset:8208
	ds_load_2addr_b64 v[44:47], v24 offset0:64 offset1:96
	s_add_co_i32 s9, s9, 32
	s_delay_alu instid0(SALU_CYCLE_1) | instskip(SKIP_2) | instid1(VALU_DEP_1)
	s_cmp_ge_i32 s9, s23
	s_wait_dscnt 0x2
	v_pk_fma_f32 v[16:17], v[18:19], v[36:37], v[16:17] op_sel_hi:[1,0,1]
	v_pk_fma_f32 v[16:17], v[18:19], v[36:37], v[16:17] op_sel:[1,1,0] op_sel_hi:[0,1,1] neg_lo:[1,0,0]
	v_mov_b32_e32 v18, v39
	s_delay_alu instid0(VALU_DEP_2) | instskip(NEXT) | instid1(VALU_DEP_1)
	v_pk_fma_f32 v[16:17], v[20:21], v[38:39], v[16:17] op_sel_hi:[1,0,1]
	v_pk_fma_f32 v[20:21], v[20:21], v[18:19], v[16:17] op_sel:[1,0,0] op_sel_hi:[0,0,1] neg_lo:[1,0,0]
	ds_load_b128 v[16:19], v25 offset:8224
	ds_load_2addr_b64 v[36:39], v24 offset0:128 offset1:160
	s_wait_dscnt 0x2
	v_pk_fma_f32 v[20:21], v[44:45], v[40:41], v[20:21] op_sel_hi:[1,0,1]
	s_delay_alu instid0(VALU_DEP_1) | instskip(SKIP_1) | instid1(VALU_DEP_2)
	v_pk_fma_f32 v[20:21], v[44:45], v[40:41], v[20:21] op_sel:[1,1,0] op_sel_hi:[0,1,1] neg_lo:[1,0,0]
	v_mov_b32_e32 v40, v43
	v_pk_fma_f32 v[20:21], v[46:47], v[42:43], v[20:21] op_sel_hi:[1,0,1]
	s_delay_alu instid0(VALU_DEP_1) | instskip(SKIP_4) | instid1(VALU_DEP_1)
	v_pk_fma_f32 v[20:21], v[46:47], v[40:41], v[20:21] op_sel:[1,0,0] op_sel_hi:[0,0,1] neg_lo:[1,0,0]
	ds_load_b128 v[40:43], v25 offset:8240
	ds_load_2addr_b64 v[44:47], v24 offset0:192 offset1:224
	s_wait_dscnt 0x2
	v_pk_fma_f32 v[20:21], v[36:37], v[16:17], v[20:21] op_sel_hi:[1,0,1]
	v_pk_fma_f32 v[16:17], v[36:37], v[16:17], v[20:21] op_sel:[1,1,0] op_sel_hi:[0,1,1] neg_lo:[1,0,0]
	v_mov_b32_e32 v20, v19
	s_delay_alu instid0(VALU_DEP_2) | instskip(NEXT) | instid1(VALU_DEP_1)
	v_pk_fma_f32 v[16:17], v[38:39], v[18:19], v[16:17] op_sel_hi:[1,0,1]
	v_pk_fma_f32 v[20:21], v[38:39], v[20:21], v[16:17] op_sel:[1,0,0] op_sel_hi:[0,0,1] neg_lo:[1,0,0]
	ds_load_b128 v[16:19], v25 offset:8256
	ds_load_2addr_b64 v[36:39], v27 offset1:32
	s_wait_dscnt 0x2
	v_pk_fma_f32 v[20:21], v[44:45], v[40:41], v[20:21] op_sel_hi:[1,0,1]
	s_delay_alu instid0(VALU_DEP_1) | instskip(SKIP_1) | instid1(VALU_DEP_2)
	v_pk_fma_f32 v[20:21], v[44:45], v[40:41], v[20:21] op_sel:[1,1,0] op_sel_hi:[0,1,1] neg_lo:[1,0,0]
	v_mov_b32_e32 v40, v43
	v_pk_fma_f32 v[20:21], v[46:47], v[42:43], v[20:21] op_sel_hi:[1,0,1]
	s_delay_alu instid0(VALU_DEP_1) | instskip(SKIP_4) | instid1(VALU_DEP_1)
	v_pk_fma_f32 v[20:21], v[46:47], v[40:41], v[20:21] op_sel:[1,0,0] op_sel_hi:[0,0,1] neg_lo:[1,0,0]
	ds_load_b128 v[40:43], v25 offset:8272
	ds_load_2addr_b64 v[44:47], v27 offset0:64 offset1:96
	s_wait_dscnt 0x2
	v_pk_fma_f32 v[20:21], v[36:37], v[16:17], v[20:21] op_sel_hi:[1,0,1]
	v_pk_fma_f32 v[16:17], v[36:37], v[16:17], v[20:21] op_sel:[1,1,0] op_sel_hi:[0,1,1] neg_lo:[1,0,0]
	v_mov_b32_e32 v20, v19
	s_delay_alu instid0(VALU_DEP_2) | instskip(NEXT) | instid1(VALU_DEP_1)
	v_pk_fma_f32 v[16:17], v[38:39], v[18:19], v[16:17] op_sel_hi:[1,0,1]
	v_pk_fma_f32 v[20:21], v[38:39], v[20:21], v[16:17] op_sel:[1,0,0] op_sel_hi:[0,0,1] neg_lo:[1,0,0]
	ds_load_b128 v[16:19], v25 offset:8288
	ds_load_2addr_b64 v[36:39], v27 offset0:128 offset1:160
	s_wait_dscnt 0x2
	v_pk_fma_f32 v[20:21], v[44:45], v[40:41], v[20:21] op_sel_hi:[1,0,1]
	s_delay_alu instid0(VALU_DEP_1) | instskip(SKIP_1) | instid1(VALU_DEP_2)
	v_pk_fma_f32 v[20:21], v[44:45], v[40:41], v[20:21] op_sel:[1,1,0] op_sel_hi:[0,1,1] neg_lo:[1,0,0]
	v_mov_b32_e32 v40, v43
	v_pk_fma_f32 v[20:21], v[46:47], v[42:43], v[20:21] op_sel_hi:[1,0,1]
	s_delay_alu instid0(VALU_DEP_1) | instskip(SKIP_4) | instid1(VALU_DEP_1)
	v_pk_fma_f32 v[20:21], v[46:47], v[40:41], v[20:21] op_sel:[1,0,0] op_sel_hi:[0,0,1] neg_lo:[1,0,0]
	ds_load_b128 v[40:43], v25 offset:8304
	ds_load_2addr_b64 v[44:47], v27 offset0:192 offset1:224
	s_wait_dscnt 0x2
	v_pk_fma_f32 v[20:21], v[36:37], v[16:17], v[20:21] op_sel_hi:[1,0,1]
	v_pk_fma_f32 v[16:17], v[36:37], v[16:17], v[20:21] op_sel:[1,1,0] op_sel_hi:[0,1,1] neg_lo:[1,0,0]
	v_mov_b32_e32 v20, v19
	s_delay_alu instid0(VALU_DEP_2) | instskip(NEXT) | instid1(VALU_DEP_1)
	v_pk_fma_f32 v[16:17], v[38:39], v[18:19], v[16:17] op_sel_hi:[1,0,1]
	v_pk_fma_f32 v[20:21], v[38:39], v[20:21], v[16:17] op_sel:[1,0,0] op_sel_hi:[0,0,1] neg_lo:[1,0,0]
	ds_load_b128 v[16:19], v25 offset:8320
	ds_load_2addr_b64 v[36:39], v28 offset1:32
	s_wait_dscnt 0x2
	v_pk_fma_f32 v[20:21], v[44:45], v[40:41], v[20:21] op_sel_hi:[1,0,1]
	s_delay_alu instid0(VALU_DEP_1) | instskip(SKIP_1) | instid1(VALU_DEP_2)
	v_pk_fma_f32 v[20:21], v[44:45], v[40:41], v[20:21] op_sel:[1,1,0] op_sel_hi:[0,1,1] neg_lo:[1,0,0]
	v_mov_b32_e32 v40, v43
	v_pk_fma_f32 v[20:21], v[46:47], v[42:43], v[20:21] op_sel_hi:[1,0,1]
	s_delay_alu instid0(VALU_DEP_1) | instskip(SKIP_4) | instid1(VALU_DEP_1)
	v_pk_fma_f32 v[20:21], v[46:47], v[40:41], v[20:21] op_sel:[1,0,0] op_sel_hi:[0,0,1] neg_lo:[1,0,0]
	ds_load_b128 v[40:43], v25 offset:8336
	ds_load_2addr_b64 v[44:47], v28 offset0:64 offset1:96
	;; [unrolled: 38-line block ×3, first 2 shown]
	s_wait_dscnt 0x2
	v_pk_fma_f32 v[20:21], v[36:37], v[16:17], v[20:21] op_sel_hi:[1,0,1]
	v_pk_fma_f32 v[16:17], v[36:37], v[16:17], v[20:21] op_sel:[1,1,0] op_sel_hi:[0,1,1] neg_lo:[1,0,0]
	v_mov_b32_e32 v20, v19
	s_delay_alu instid0(VALU_DEP_2) | instskip(NEXT) | instid1(VALU_DEP_1)
	v_pk_fma_f32 v[16:17], v[38:39], v[18:19], v[16:17] op_sel_hi:[1,0,1]
	v_pk_fma_f32 v[20:21], v[38:39], v[20:21], v[16:17] op_sel:[1,0,0] op_sel_hi:[0,0,1] neg_lo:[1,0,0]
	ds_load_b128 v[16:19], v25 offset:8416
	ds_load_2addr_b64 v[36:39], v31 offset0:128 offset1:160
	s_wait_dscnt 0x2
	v_pk_fma_f32 v[20:21], v[44:45], v[40:41], v[20:21] op_sel_hi:[1,0,1]
	s_delay_alu instid0(VALU_DEP_1) | instskip(SKIP_1) | instid1(VALU_DEP_2)
	v_pk_fma_f32 v[20:21], v[44:45], v[40:41], v[20:21] op_sel:[1,1,0] op_sel_hi:[0,1,1] neg_lo:[1,0,0]
	v_mov_b32_e32 v40, v43
	v_pk_fma_f32 v[20:21], v[46:47], v[42:43], v[20:21] op_sel_hi:[1,0,1]
	s_delay_alu instid0(VALU_DEP_1)
	v_pk_fma_f32 v[20:21], v[46:47], v[40:41], v[20:21] op_sel:[1,0,0] op_sel_hi:[0,0,1] neg_lo:[1,0,0]
	ds_load_b128 v[40:43], v25 offset:8432
	ds_load_2addr_b64 v[44:47], v31 offset0:192 offset1:224
	s_wait_dscnt 0x0
	s_barrier_signal -1
	s_barrier_wait -1
	v_pk_fma_f32 v[20:21], v[36:37], v[16:17], v[20:21] op_sel_hi:[1,0,1]
	s_delay_alu instid0(VALU_DEP_1) | instskip(SKIP_1) | instid1(VALU_DEP_2)
	v_pk_fma_f32 v[16:17], v[36:37], v[16:17], v[20:21] op_sel:[1,1,0] op_sel_hi:[0,1,1] neg_lo:[1,0,0]
	v_mov_b32_e32 v20, v19
	v_pk_fma_f32 v[16:17], v[38:39], v[18:19], v[16:17] op_sel_hi:[1,0,1]
	v_mov_b32_e32 v18, v43
	s_delay_alu instid0(VALU_DEP_2) | instskip(NEXT) | instid1(VALU_DEP_1)
	v_pk_fma_f32 v[16:17], v[38:39], v[20:21], v[16:17] op_sel:[1,0,0] op_sel_hi:[0,0,1] neg_lo:[1,0,0]
	v_pk_fma_f32 v[16:17], v[44:45], v[40:41], v[16:17] op_sel_hi:[1,0,1]
	s_delay_alu instid0(VALU_DEP_1) | instskip(NEXT) | instid1(VALU_DEP_1)
	v_pk_fma_f32 v[16:17], v[44:45], v[40:41], v[16:17] op_sel:[1,1,0] op_sel_hi:[0,1,1] neg_lo:[1,0,0]
	v_pk_fma_f32 v[16:17], v[46:47], v[42:43], v[16:17] op_sel_hi:[1,0,1]
	s_delay_alu instid0(VALU_DEP_1)
	v_pk_fma_f32 v[16:17], v[46:47], v[18:19], v[16:17] op_sel:[1,0,0] op_sel_hi:[0,0,1] neg_lo:[1,0,0]
	s_cbranch_scc1 .LBB6_10
.LBB6_13:                               ;   Parent Loop BB6_8 Depth=1
                                        ;     Parent Loop BB6_11 Depth=2
                                        ; =>    This Inner Loop Header: Depth=3
	s_wait_xcnt 0x0
	s_mov_b32 s28, -1
	s_and_b32 vcc_lo, exec_lo, s16
	s_mov_b32 s20, 0
                                        ; implicit-def: $vgpr18_vgpr19
	s_cbranch_vccnz .LBB6_23
; %bb.14:                               ;   in Loop: Header=BB6_13 Depth=3
	s_and_b32 vcc_lo, exec_lo, s28
	s_cbranch_vccnz .LBB6_28
.LBB6_15:                               ;   in Loop: Header=BB6_13 Depth=3
	v_dual_mov_b32 v20, 0 :: v_dual_mov_b32 v21, 0
	s_and_saveexec_b32 s28, s20
	s_cbranch_execnz .LBB6_33
.LBB6_16:                               ;   in Loop: Header=BB6_13 Depth=3
	s_or_b32 exec_lo, exec_lo, s28
	s_delay_alu instid0(SALU_CYCLE_1)
	s_and_b32 vcc_lo, exec_lo, s17
	ds_store_b64 v29, v[20:21]
	s_cbranch_vccz .LBB6_34
.LBB6_17:                               ;   in Loop: Header=BB6_13 Depth=3
	s_mov_b32 s28, 0
	s_mov_b32 s20, 0
                                        ; implicit-def: $vgpr20
	s_and_saveexec_b32 s29, s1
	s_cbranch_execz .LBB6_21
; %bb.18:                               ;   in Loop: Header=BB6_13 Depth=3
	v_add_nc_u32_e32 v18, s9, v22
	s_mov_b32 s30, exec_lo
                                        ; implicit-def: $vgpr20
	s_delay_alu instid0(VALU_DEP_1)
	v_cmpx_gt_i32_e64 s23, v18
	s_xor_b32 s30, exec_lo, s30
; %bb.19:                               ;   in Loop: Header=BB6_13 Depth=3
	v_add_nc_u32_e32 v18, s3, v18
	s_mov_b32 s20, exec_lo
	s_delay_alu instid0(VALU_DEP_1)
	v_mad_u32 v20, v18, s23, v32
; %bb.20:                               ;   in Loop: Header=BB6_13 Depth=3
	s_or_b32 exec_lo, exec_lo, s30
	s_delay_alu instid0(SALU_CYCLE_1)
	s_and_b32 s20, s20, exec_lo
.LBB6_21:                               ;   in Loop: Header=BB6_13 Depth=3
	s_or_b32 exec_lo, exec_lo, s29
	s_delay_alu instid0(SALU_CYCLE_1)
	s_and_b32 vcc_lo, exec_lo, s28
	s_cbranch_vccnz .LBB6_35
.LBB6_22:                               ;   in Loop: Header=BB6_13 Depth=3
	v_dual_mov_b32 v18, 0 :: v_dual_mov_b32 v19, 0
	s_and_saveexec_b32 s28, s20
	s_cbranch_execz .LBB6_12
	s_branch .LBB6_40
.LBB6_23:                               ;   in Loop: Header=BB6_13 Depth=3
	s_mov_b32 s28, 0
                                        ; implicit-def: $vgpr18_vgpr19
	s_and_saveexec_b32 s29, s0
	s_cbranch_execz .LBB6_27
; %bb.24:                               ;   in Loop: Header=BB6_13 Depth=3
	v_add_nc_u32_e32 v18, s9, v23
	s_delay_alu instid0(VALU_DEP_1) | instskip(SKIP_1) | instid1(SALU_CYCLE_1)
	v_cmp_gt_i32_e32 vcc_lo, s23, v18
                                        ; implicit-def: $vgpr18_vgpr19
	s_and_saveexec_b32 s30, vcc_lo
	s_xor_b32 s30, exec_lo, s30
	s_cbranch_execz .LBB6_26
; %bb.25:                               ;   in Loop: Header=BB6_13 Depth=3
	v_add_nc_u32_e32 v18, s9, v34
	s_mov_b32 s20, exec_lo
	s_delay_alu instid0(VALU_DEP_1) | instskip(NEXT) | instid1(VALU_DEP_1)
	v_ashrrev_i32_e32 v19, 31, v18
	v_mul_u64_e32 v[18:19], s[10:11], v[18:19]
	s_delay_alu instid0(VALU_DEP_1)
	v_lshl_add_u64 v[18:19], v[18:19], 3, v[8:9]
.LBB6_26:                               ;   in Loop: Header=BB6_13 Depth=3
	s_or_b32 exec_lo, exec_lo, s30
	s_delay_alu instid0(SALU_CYCLE_1)
	s_and_b32 s20, s20, exec_lo
.LBB6_27:                               ;   in Loop: Header=BB6_13 Depth=3
	s_or_b32 exec_lo, exec_lo, s29
	s_delay_alu instid0(SALU_CYCLE_1)
	s_and_b32 vcc_lo, exec_lo, s28
	s_cbranch_vccz .LBB6_15
.LBB6_28:                               ;   in Loop: Header=BB6_13 Depth=3
                                        ; implicit-def: $vgpr18_vgpr19
	s_and_saveexec_b32 s28, s0
	s_cbranch_execz .LBB6_32
; %bb.29:                               ;   in Loop: Header=BB6_13 Depth=3
	v_add_nc_u32_e32 v18, s9, v23
	s_mov_b32 s30, s20
	s_delay_alu instid0(VALU_DEP_1)
	v_cmp_gt_i32_e32 vcc_lo, s23, v18
                                        ; implicit-def: $vgpr18_vgpr19
	s_and_saveexec_b32 s29, vcc_lo
; %bb.30:                               ;   in Loop: Header=BB6_13 Depth=3
	v_add_nc_u32_e32 v18, s9, v34
	s_or_b32 s30, s20, exec_lo
	s_delay_alu instid0(VALU_DEP_1) | instskip(NEXT) | instid1(VALU_DEP_1)
	v_ashrrev_i32_e32 v19, 31, v18
	v_lshl_add_u64 v[18:19], v[18:19], 3, v[12:13]
; %bb.31:                               ;   in Loop: Header=BB6_13 Depth=3
	s_or_b32 exec_lo, exec_lo, s29
	s_delay_alu instid0(SALU_CYCLE_1) | instskip(SKIP_1) | instid1(SALU_CYCLE_1)
	s_and_not1_b32 s20, s20, exec_lo
	s_and_b32 s29, s30, exec_lo
	s_or_b32 s20, s20, s29
.LBB6_32:                               ;   in Loop: Header=BB6_13 Depth=3
	s_or_b32 exec_lo, exec_lo, s28
	v_dual_mov_b32 v20, 0 :: v_dual_mov_b32 v21, 0
	s_and_saveexec_b32 s28, s20
	s_cbranch_execz .LBB6_16
.LBB6_33:                               ;   in Loop: Header=BB6_13 Depth=3
	global_load_b64 v[20:21], v[18:19], off
	s_wait_xcnt 0x0
	s_or_b32 exec_lo, exec_lo, s28
	s_delay_alu instid0(SALU_CYCLE_1)
	s_and_b32 vcc_lo, exec_lo, s17
	s_wait_loadcnt 0x0
	ds_store_b64 v29, v[20:21]
	s_cbranch_vccnz .LBB6_17
.LBB6_34:                               ;   in Loop: Header=BB6_13 Depth=3
	s_mov_b32 s20, 0
                                        ; implicit-def: $vgpr20
	s_cbranch_execz .LBB6_22
.LBB6_35:                               ;   in Loop: Header=BB6_13 Depth=3
                                        ; implicit-def: $vgpr20
	s_and_saveexec_b32 s28, s1
	s_cbranch_execz .LBB6_39
; %bb.36:                               ;   in Loop: Header=BB6_13 Depth=3
	v_add_nc_u32_e32 v18, s9, v22
	s_mov_b32 s29, s20
	s_mov_b32 s30, exec_lo
                                        ; implicit-def: $vgpr20
	s_delay_alu instid0(VALU_DEP_1)
	v_cmpx_gt_i32_e64 s23, v18
; %bb.37:                               ;   in Loop: Header=BB6_13 Depth=3
	v_add_nc_u32_e32 v20, s9, v33
	s_or_b32 s29, s20, exec_lo
; %bb.38:                               ;   in Loop: Header=BB6_13 Depth=3
	s_or_b32 exec_lo, exec_lo, s30
	s_delay_alu instid0(SALU_CYCLE_1) | instskip(SKIP_1) | instid1(SALU_CYCLE_1)
	s_and_not1_b32 s20, s20, exec_lo
	s_and_b32 s29, s29, exec_lo
	s_or_b32 s20, s20, s29
.LBB6_39:                               ;   in Loop: Header=BB6_13 Depth=3
	s_or_b32 exec_lo, exec_lo, s28
	v_dual_mov_b32 v18, 0 :: v_dual_mov_b32 v19, 0
	s_and_saveexec_b32 s28, s20
	s_cbranch_execz .LBB6_12
.LBB6_40:                               ;   in Loop: Header=BB6_13 Depth=3
	global_load_b64 v[18:19], v20, s[14:15] scale_offset
	s_branch .LBB6_12
.LBB6_41:                               ;   in Loop: Header=BB6_8 Depth=1
	v_cmp_gt_i32_e32 vcc_lo, s23, v32
	s_and_b32 s2, s27, vcc_lo
	s_delay_alu instid0(SALU_CYCLE_1)
	s_and_saveexec_b32 s1, s2
	s_cbranch_execz .LBB6_7
; %bb.42:                               ;   in Loop: Header=BB6_8 Depth=1
	v_add_nc_u32_e32 v18, s22, v32
	s_delay_alu instid0(VALU_DEP_1) | instskip(SKIP_1) | instid1(SALU_CYCLE_1)
	v_ashrrev_i32_e32 v19, 31, v18
	s_and_saveexec_b32 s2, s19
	s_xor_b32 s2, exec_lo, s2
	s_cbranch_execz .LBB6_47
; %bb.43:                               ;   in Loop: Header=BB6_8 Depth=1
	s_and_b32 vcc_lo, exec_lo, s4
	s_mov_b32 s3, -1
	s_cbranch_vccz .LBB6_45
; %bb.44:                               ;   in Loop: Header=BB6_8 Depth=1
	v_mul_u64_e32 v[20:21], s[6:7], v[18:19]
	v_pk_mul_f32 v[34:35], v[16:17], v[0:1] op_sel:[1,0]
	s_mov_b32 s3, 0
	s_delay_alu instid0(VALU_DEP_1) | instskip(NEXT) | instid1(VALU_DEP_3)
	v_pk_fma_f32 v[34:35], v[2:3], v[16:17], v[34:35] op_sel_hi:[1,0,1]
	v_lshl_add_u64 v[20:21], v[20:21], 3, v[10:11]
	global_load_b64 v[32:33], v[20:21], off
	s_wait_loadcnt 0x0
	v_pk_fma_f32 v[34:35], v[4:5], v[32:33], v[34:35] op_sel_hi:[1,0,1]
	s_delay_alu instid0(VALU_DEP_1)
	v_pk_fma_f32 v[32:33], v[6:7], v[32:33], v[34:35] op_sel:[0,1,0]
	global_store_b64 v[20:21], v[32:33], off
.LBB6_45:                               ;   in Loop: Header=BB6_8 Depth=1
	s_and_not1_b32 vcc_lo, exec_lo, s3
	s_cbranch_vccnz .LBB6_47
; %bb.46:                               ;   in Loop: Header=BB6_8 Depth=1
	v_lshl_add_u64 v[18:19], v[18:19], 3, v[14:15]
	s_wait_xcnt 0x0
	v_pk_mul_f32 v[32:33], v[16:17], v[0:1] op_sel:[1,0]
	global_load_b64 v[20:21], v[18:19], off
	v_pk_fma_f32 v[16:17], v[2:3], v[16:17], v[32:33] op_sel_hi:[1,0,1]
	s_wait_loadcnt 0x0
	s_delay_alu instid0(VALU_DEP_1) | instskip(NEXT) | instid1(VALU_DEP_1)
	v_pk_fma_f32 v[16:17], v[4:5], v[20:21], v[16:17] op_sel_hi:[1,0,1]
	v_pk_fma_f32 v[16:17], v[6:7], v[20:21], v[16:17] op_sel:[0,1,0]
	global_store_b64 v[18:19], v[16:17], off
                                        ; implicit-def: $vgpr16_vgpr17
                                        ; implicit-def: $vgpr18
.LBB6_47:                               ;   in Loop: Header=BB6_8 Depth=1
	s_wait_xcnt 0x0
	s_and_not1_saveexec_b32 s2, s2
	s_cbranch_execz .LBB6_7
; %bb.48:                               ;   in Loop: Header=BB6_8 Depth=1
	v_pk_mul_f32 v[20:21], v[16:17], v[0:1] op_sel:[1,0]
	s_and_b32 vcc_lo, exec_lo, s4
	s_mov_b32 s2, -1
	s_delay_alu instid0(VALU_DEP_1)
	v_pk_fma_f32 v[16:17], v[2:3], v[16:17], v[20:21] op_sel_hi:[1,0,1]
	s_cbranch_vccz .LBB6_50
; %bb.49:                               ;   in Loop: Header=BB6_8 Depth=1
	v_mul_u64_e32 v[20:21], s[6:7], v[18:19]
	s_mov_b32 s2, 0
	s_delay_alu instid0(VALU_DEP_1)
	v_lshl_add_u64 v[20:21], v[20:21], 3, v[10:11]
	global_store_b64 v[20:21], v[16:17], off
.LBB6_50:                               ;   in Loop: Header=BB6_8 Depth=1
	s_and_not1_b32 vcc_lo, exec_lo, s2
	s_cbranch_vccnz .LBB6_7
; %bb.51:                               ;   in Loop: Header=BB6_8 Depth=1
	v_lshl_add_u64 v[18:19], v[18:19], 3, v[14:15]
	global_store_b64 v[18:19], v[16:17], off
	s_branch .LBB6_7
.LBB6_52:
	s_endpgm
	.section	.rodata,"a",@progbits
	.p2align	6, 0x0
	.amdhsa_kernel _ZN9rocsparseL29bsrmm_general_blockdim_kernelILj32ELj32Eii21rocsparse_complex_numIfES2_S2_S2_EEvb20rocsparse_direction_T2_S4_llNS_24const_host_device_scalarIT6_EEPKT1_PKS4_PKT3_S4_PKT4_llS7_PT5_ll16rocsparse_order_21rocsparse_index_base_b
		.amdhsa_group_segment_fixed_size 16384
		.amdhsa_private_segment_fixed_size 0
		.amdhsa_kernarg_size 140
		.amdhsa_user_sgpr_count 2
		.amdhsa_user_sgpr_dispatch_ptr 0
		.amdhsa_user_sgpr_queue_ptr 0
		.amdhsa_user_sgpr_kernarg_segment_ptr 1
		.amdhsa_user_sgpr_dispatch_id 0
		.amdhsa_user_sgpr_kernarg_preload_length 0
		.amdhsa_user_sgpr_kernarg_preload_offset 0
		.amdhsa_user_sgpr_private_segment_size 0
		.amdhsa_wavefront_size32 1
		.amdhsa_uses_dynamic_stack 0
		.amdhsa_enable_private_segment 0
		.amdhsa_system_sgpr_workgroup_id_x 1
		.amdhsa_system_sgpr_workgroup_id_y 1
		.amdhsa_system_sgpr_workgroup_id_z 0
		.amdhsa_system_sgpr_workgroup_info 0
		.amdhsa_system_vgpr_workitem_id 1
		.amdhsa_next_free_vgpr 48
		.amdhsa_next_free_sgpr 31
		.amdhsa_named_barrier_count 0
		.amdhsa_reserve_vcc 1
		.amdhsa_float_round_mode_32 0
		.amdhsa_float_round_mode_16_64 0
		.amdhsa_float_denorm_mode_32 3
		.amdhsa_float_denorm_mode_16_64 3
		.amdhsa_fp16_overflow 0
		.amdhsa_memory_ordered 1
		.amdhsa_forward_progress 1
		.amdhsa_inst_pref_size 22
		.amdhsa_round_robin_scheduling 0
		.amdhsa_exception_fp_ieee_invalid_op 0
		.amdhsa_exception_fp_denorm_src 0
		.amdhsa_exception_fp_ieee_div_zero 0
		.amdhsa_exception_fp_ieee_overflow 0
		.amdhsa_exception_fp_ieee_underflow 0
		.amdhsa_exception_fp_ieee_inexact 0
		.amdhsa_exception_int_div_zero 0
	.end_amdhsa_kernel
	.section	.text._ZN9rocsparseL29bsrmm_general_blockdim_kernelILj32ELj32Eii21rocsparse_complex_numIfES2_S2_S2_EEvb20rocsparse_direction_T2_S4_llNS_24const_host_device_scalarIT6_EEPKT1_PKS4_PKT3_S4_PKT4_llS7_PT5_ll16rocsparse_order_21rocsparse_index_base_b,"axG",@progbits,_ZN9rocsparseL29bsrmm_general_blockdim_kernelILj32ELj32Eii21rocsparse_complex_numIfES2_S2_S2_EEvb20rocsparse_direction_T2_S4_llNS_24const_host_device_scalarIT6_EEPKT1_PKS4_PKT3_S4_PKT4_llS7_PT5_ll16rocsparse_order_21rocsparse_index_base_b,comdat
.Lfunc_end6:
	.size	_ZN9rocsparseL29bsrmm_general_blockdim_kernelILj32ELj32Eii21rocsparse_complex_numIfES2_S2_S2_EEvb20rocsparse_direction_T2_S4_llNS_24const_host_device_scalarIT6_EEPKT1_PKS4_PKT3_S4_PKT4_llS7_PT5_ll16rocsparse_order_21rocsparse_index_base_b, .Lfunc_end6-_ZN9rocsparseL29bsrmm_general_blockdim_kernelILj32ELj32Eii21rocsparse_complex_numIfES2_S2_S2_EEvb20rocsparse_direction_T2_S4_llNS_24const_host_device_scalarIT6_EEPKT1_PKS4_PKT3_S4_PKT4_llS7_PT5_ll16rocsparse_order_21rocsparse_index_base_b
                                        ; -- End function
	.set _ZN9rocsparseL29bsrmm_general_blockdim_kernelILj32ELj32Eii21rocsparse_complex_numIfES2_S2_S2_EEvb20rocsparse_direction_T2_S4_llNS_24const_host_device_scalarIT6_EEPKT1_PKS4_PKT3_S4_PKT4_llS7_PT5_ll16rocsparse_order_21rocsparse_index_base_b.num_vgpr, 48
	.set _ZN9rocsparseL29bsrmm_general_blockdim_kernelILj32ELj32Eii21rocsparse_complex_numIfES2_S2_S2_EEvb20rocsparse_direction_T2_S4_llNS_24const_host_device_scalarIT6_EEPKT1_PKS4_PKT3_S4_PKT4_llS7_PT5_ll16rocsparse_order_21rocsparse_index_base_b.num_agpr, 0
	.set _ZN9rocsparseL29bsrmm_general_blockdim_kernelILj32ELj32Eii21rocsparse_complex_numIfES2_S2_S2_EEvb20rocsparse_direction_T2_S4_llNS_24const_host_device_scalarIT6_EEPKT1_PKS4_PKT3_S4_PKT4_llS7_PT5_ll16rocsparse_order_21rocsparse_index_base_b.numbered_sgpr, 31
	.set _ZN9rocsparseL29bsrmm_general_blockdim_kernelILj32ELj32Eii21rocsparse_complex_numIfES2_S2_S2_EEvb20rocsparse_direction_T2_S4_llNS_24const_host_device_scalarIT6_EEPKT1_PKS4_PKT3_S4_PKT4_llS7_PT5_ll16rocsparse_order_21rocsparse_index_base_b.num_named_barrier, 0
	.set _ZN9rocsparseL29bsrmm_general_blockdim_kernelILj32ELj32Eii21rocsparse_complex_numIfES2_S2_S2_EEvb20rocsparse_direction_T2_S4_llNS_24const_host_device_scalarIT6_EEPKT1_PKS4_PKT3_S4_PKT4_llS7_PT5_ll16rocsparse_order_21rocsparse_index_base_b.private_seg_size, 0
	.set _ZN9rocsparseL29bsrmm_general_blockdim_kernelILj32ELj32Eii21rocsparse_complex_numIfES2_S2_S2_EEvb20rocsparse_direction_T2_S4_llNS_24const_host_device_scalarIT6_EEPKT1_PKS4_PKT3_S4_PKT4_llS7_PT5_ll16rocsparse_order_21rocsparse_index_base_b.uses_vcc, 1
	.set _ZN9rocsparseL29bsrmm_general_blockdim_kernelILj32ELj32Eii21rocsparse_complex_numIfES2_S2_S2_EEvb20rocsparse_direction_T2_S4_llNS_24const_host_device_scalarIT6_EEPKT1_PKS4_PKT3_S4_PKT4_llS7_PT5_ll16rocsparse_order_21rocsparse_index_base_b.uses_flat_scratch, 1
	.set _ZN9rocsparseL29bsrmm_general_blockdim_kernelILj32ELj32Eii21rocsparse_complex_numIfES2_S2_S2_EEvb20rocsparse_direction_T2_S4_llNS_24const_host_device_scalarIT6_EEPKT1_PKS4_PKT3_S4_PKT4_llS7_PT5_ll16rocsparse_order_21rocsparse_index_base_b.has_dyn_sized_stack, 0
	.set _ZN9rocsparseL29bsrmm_general_blockdim_kernelILj32ELj32Eii21rocsparse_complex_numIfES2_S2_S2_EEvb20rocsparse_direction_T2_S4_llNS_24const_host_device_scalarIT6_EEPKT1_PKS4_PKT3_S4_PKT4_llS7_PT5_ll16rocsparse_order_21rocsparse_index_base_b.has_recursion, 0
	.set _ZN9rocsparseL29bsrmm_general_blockdim_kernelILj32ELj32Eii21rocsparse_complex_numIfES2_S2_S2_EEvb20rocsparse_direction_T2_S4_llNS_24const_host_device_scalarIT6_EEPKT1_PKS4_PKT3_S4_PKT4_llS7_PT5_ll16rocsparse_order_21rocsparse_index_base_b.has_indirect_call, 0
	.section	.AMDGPU.csdata,"",@progbits
; Kernel info:
; codeLenInByte = 2736
; TotalNumSgprs: 33
; NumVgprs: 48
; ScratchSize: 0
; MemoryBound: 0
; FloatMode: 240
; IeeeMode: 1
; LDSByteSize: 16384 bytes/workgroup (compile time only)
; SGPRBlocks: 0
; VGPRBlocks: 2
; NumSGPRsForWavesPerEU: 33
; NumVGPRsForWavesPerEU: 48
; NamedBarCnt: 0
; Occupancy: 16
; WaveLimiterHint : 0
; COMPUTE_PGM_RSRC2:SCRATCH_EN: 0
; COMPUTE_PGM_RSRC2:USER_SGPR: 2
; COMPUTE_PGM_RSRC2:TRAP_HANDLER: 0
; COMPUTE_PGM_RSRC2:TGID_X_EN: 1
; COMPUTE_PGM_RSRC2:TGID_Y_EN: 1
; COMPUTE_PGM_RSRC2:TGID_Z_EN: 0
; COMPUTE_PGM_RSRC2:TIDIG_COMP_CNT: 1
	.section	.text._ZN9rocsparseL29bsrmm_general_blockdim_kernelILj32ELj32Eli21rocsparse_complex_numIfES2_S2_S2_EEvb20rocsparse_direction_T2_S4_llNS_24const_host_device_scalarIT6_EEPKT1_PKS4_PKT3_S4_PKT4_llS7_PT5_ll16rocsparse_order_21rocsparse_index_base_b,"axG",@progbits,_ZN9rocsparseL29bsrmm_general_blockdim_kernelILj32ELj32Eli21rocsparse_complex_numIfES2_S2_S2_EEvb20rocsparse_direction_T2_S4_llNS_24const_host_device_scalarIT6_EEPKT1_PKS4_PKT3_S4_PKT4_llS7_PT5_ll16rocsparse_order_21rocsparse_index_base_b,comdat
	.globl	_ZN9rocsparseL29bsrmm_general_blockdim_kernelILj32ELj32Eli21rocsparse_complex_numIfES2_S2_S2_EEvb20rocsparse_direction_T2_S4_llNS_24const_host_device_scalarIT6_EEPKT1_PKS4_PKT3_S4_PKT4_llS7_PT5_ll16rocsparse_order_21rocsparse_index_base_b ; -- Begin function _ZN9rocsparseL29bsrmm_general_blockdim_kernelILj32ELj32Eli21rocsparse_complex_numIfES2_S2_S2_EEvb20rocsparse_direction_T2_S4_llNS_24const_host_device_scalarIT6_EEPKT1_PKS4_PKT3_S4_PKT4_llS7_PT5_ll16rocsparse_order_21rocsparse_index_base_b
	.p2align	8
	.type	_ZN9rocsparseL29bsrmm_general_blockdim_kernelILj32ELj32Eli21rocsparse_complex_numIfES2_S2_S2_EEvb20rocsparse_direction_T2_S4_llNS_24const_host_device_scalarIT6_EEPKT1_PKS4_PKT3_S4_PKT4_llS7_PT5_ll16rocsparse_order_21rocsparse_index_base_b,@function
_ZN9rocsparseL29bsrmm_general_blockdim_kernelILj32ELj32Eli21rocsparse_complex_numIfES2_S2_S2_EEvb20rocsparse_direction_T2_S4_llNS_24const_host_device_scalarIT6_EEPKT1_PKS4_PKT3_S4_PKT4_llS7_PT5_ll16rocsparse_order_21rocsparse_index_base_b: ; @_ZN9rocsparseL29bsrmm_general_blockdim_kernelILj32ELj32Eli21rocsparse_complex_numIfES2_S2_S2_EEvb20rocsparse_direction_T2_S4_llNS_24const_host_device_scalarIT6_EEPKT1_PKS4_PKT3_S4_PKT4_llS7_PT5_ll16rocsparse_order_21rocsparse_index_base_b
; %bb.0:
	s_clause 0x2
	s_load_b96 s[20:22], s[0:1], 0x80
	s_load_b64 s[2:3], s[0:1], 0x20
	s_load_b64 s[4:5], s[0:1], 0x60
	v_mov_b32_e32 v1, 0
	s_add_nc_u64 s[6:7], s[0:1], 32
	s_add_nc_u64 s[8:9], s[0:1], 0x60
	s_wait_kmcnt 0x0
	s_bitcmp1_b32 s22, 0
	s_cselect_b32 s3, s7, s3
	s_cselect_b32 s2, s6, s2
	;; [unrolled: 1-line block ×4, first 2 shown]
	s_clause 0x1
	flat_load_b64 v[2:3], v1, s[2:3]
	flat_load_b64 v[4:5], v1, s[4:5]
	s_wait_loadcnt_dscnt 0x101
	v_cmp_eq_f32_e32 vcc_lo, 0, v2
	v_cmp_eq_f32_e64 s3, 0, v3
	s_wait_loadcnt_dscnt 0x0
	v_cmp_eq_f32_e64 s4, 1.0, v4
	v_cmp_eq_f32_e64 s2, 0, v5
	s_and_b32 s3, vcc_lo, s3
	s_and_b32 s4, s4, s2
	s_delay_alu instid0(SALU_CYCLE_1) | instskip(NEXT) | instid1(SALU_CYCLE_1)
	s_and_b32 s3, s3, s4
	s_xor_b32 s3, s3, -1
	s_delay_alu instid0(SALU_CYCLE_1)
	s_and_saveexec_b32 s4, s3
	s_cbranch_execz .LBB7_48
; %bb.1:
	s_clause 0x1
	s_load_b128 s[16:19], s[0:1], 0x0
	s_load_b64 s[4:5], s[0:1], 0x28
	s_bfe_u32 s3, ttmp6, 0x4000c
	s_and_b32 s6, ttmp6, 15
	s_add_co_i32 s3, s3, 1
	s_mov_b64 s[22:23], 0
	s_mul_i32 s7, ttmp9, s3
	s_getreg_b32 s3, hwreg(HW_REG_IB_STS2, 6, 4)
	s_add_co_i32 s6, s6, s7
	s_cmp_eq_u32 s3, 0
	s_mov_b64 s[24:25], 0
	s_cselect_b32 s26, ttmp9, s6
	s_wait_kmcnt 0x0
	s_cmp_lt_i32 s26, s18
	s_cselect_b32 s28, -1, 0
	s_cmp_ge_i32 s26, s18
	s_cbranch_scc0 .LBB7_4
; %bb.2:
	s_and_not1_b32 vcc_lo, exec_lo, s28
	s_cbranch_vccz .LBB7_5
.LBB7_3:
	s_load_b32 s18, s[0:1], 0x40
	s_wait_kmcnt 0x0
	s_cmp_lt_i32 s18, 1
	s_cbranch_scc0 .LBB7_6
	s_branch .LBB7_48
.LBB7_4:
	s_ashr_i32 s27, s26, 31
	s_mov_b32 s9, 0
	s_lshl_b64 s[6:7], s[26:27], 3
	s_mov_b32 s8, s21
	s_add_nc_u64 s[6:7], s[4:5], s[6:7]
	s_load_b64 s[6:7], s[6:7], 0x0
	s_wait_kmcnt 0x0
	s_sub_nc_u64 s[24:25], s[6:7], s[8:9]
	s_and_not1_b32 vcc_lo, exec_lo, s28
	s_cbranch_vccnz .LBB7_3
.LBB7_5:
	s_ashr_i32 s27, s26, 31
	s_delay_alu instid0(SALU_CYCLE_1) | instskip(NEXT) | instid1(SALU_CYCLE_1)
	s_lshl_b64 s[6:7], s[26:27], 3
	s_add_nc_u64 s[4:5], s[4:5], s[6:7]
	s_mov_b32 s7, 0
	s_load_b64 s[4:5], s[4:5], 0x8
	s_mov_b32 s6, s21
	s_wait_kmcnt 0x0
	s_sub_nc_u64 s[22:23], s[4:5], s[6:7]
	s_load_b32 s18, s[0:1], 0x40
	s_wait_kmcnt 0x0
	s_cmp_lt_i32 s18, 1
	s_cbranch_scc1 .LBB7_48
.LBB7_6:
	s_bitcmp1_b32 s16, 0
	s_load_b128 s[4:7], s[0:1], 0x68
	s_cselect_b32 s12, -1, 0
	s_bfe_u32 s13, ttmp6, 0x40010
	s_load_b128 s[8:11], s[0:1], 0x48
	s_add_co_i32 s13, s13, 1
	s_bfe_u32 s14, ttmp6, 0x40004
	s_mul_i32 s13, ttmp7, s13
	v_bfe_u32 v24, v0, 10, 10
	s_xor_b32 s16, s12, -1
	s_add_co_i32 s14, s14, s13
	s_cmp_eq_u32 s3, 0
	v_and_b32_e32 v25, 0x3ff, v0
	s_cselect_b32 s3, ttmp7, s14
	s_load_b128 s[12:15], s[0:1], 0x30
	v_lshl_add_u32 v8, s3, 5, v24
	v_cmp_neq_f32_e32 vcc_lo, 0, v4
	v_dual_lshlrev_b32 v26, 3, v25 :: v_dual_lshlrev_b32 v27, 8, v24
	s_delay_alu instid0(VALU_DEP_3) | instskip(SKIP_2) | instid1(VALU_DEP_3)
	v_dual_mov_b32 v1, v2 :: v_dual_ashrrev_i32 v9, 31, v8
	s_wait_xcnt 0x0
	v_cmp_gt_i32_e64 s0, s19, v8
	v_or_b32_e32 v16, 0x2000, v26
	s_cmp_lg_u32 s17, 0
	v_cmp_lt_i64_e64 s27, s[24:25], s[22:23]
	s_wait_kmcnt 0x0
	v_mul_u64_e32 v[12:13], s[10:11], v[8:9]
	v_mul_u64_e32 v[14:15], s[6:7], v[8:9]
	v_lshlrev_b64_e32 v[10:11], 3, v[8:9]
	s_cselect_b32 s17, -1, 0
	s_xor_b32 s1, s2, -1
	v_xor_b32_e32 v0, 0x80000000, v3
	v_xor_b32_e32 v6, 0x80000000, v5
	v_dual_mov_b32 v7, v4 :: v_dual_add_nc_u32 v28, v26, v27
	s_delay_alu instid0(VALU_DEP_4)
	v_add_nc_u64_e32 v[8:9], s[8:9], v[10:11]
	v_add_nc_u64_e32 v[10:11], s[4:5], v[10:11]
	v_add_nc_u32_e32 v29, 0x800, v26
	v_add_nc_u32_e32 v30, 0x1000, v26
	s_or_b32 s19, vcc_lo, s1
	v_add_nc_u32_e32 v31, v16, v27
	s_and_b32 s28, s28, s0
	v_add_nc_u32_e32 v32, 0x1800, v26
	s_mov_b32 s3, 0
	s_cmp_lg_u32 s20, 1
	s_mul_i32 s26, s18, s26
	s_mul_i32 s2, s18, s18
	s_cselect_b32 s20, -1, 0
	s_mov_b32 s29, s3
	v_lshl_add_u64 v[12:13], v[12:13], 3, s[8:9]
	v_lshl_add_u64 v[14:15], v[14:15], 3, s[4:5]
	s_branch .LBB7_8
.LBB7_7:                                ;   in Loop: Header=BB7_8 Depth=1
	s_wait_xcnt 0x0
	s_or_b32 exec_lo, exec_lo, s1
	s_add_co_i32 s29, s29, 32
	s_delay_alu instid0(SALU_CYCLE_1)
	s_cmp_lt_i32 s29, s18
	s_cbranch_scc0 .LBB7_48
.LBB7_8:                                ; =>This Loop Header: Depth=1
                                        ;     Child Loop BB7_11 Depth 2
                                        ;       Child Loop BB7_13 Depth 3
	v_dual_add_nc_u32 v33, s29, v25 :: v_dual_mov_b32 v17, 0
	s_and_not1_b32 vcc_lo, exec_lo, s27
	s_delay_alu instid0(VALU_DEP_1) | instskip(NEXT) | instid1(VALU_DEP_2)
	v_cmp_gt_i32_e64 s1, s18, v33
	v_mov_b32_e32 v16, v17
	s_cbranch_vccnz .LBB7_37
; %bb.9:                                ;   in Loop: Header=BB7_8 Depth=1
	v_mul_lo_u32 v34, v33, s18
	v_mov_b64_e32 v[16:17], 0
	s_mov_b64 s[4:5], s[24:25]
	s_branch .LBB7_11
.LBB7_10:                               ;   in Loop: Header=BB7_11 Depth=2
	s_add_nc_u64 s[4:5], s[4:5], 1
	s_delay_alu instid0(SALU_CYCLE_1)
	v_cmp_ge_i64_e64 s8, s[4:5], s[22:23]
	s_and_b32 vcc_lo, exec_lo, s8
	s_cbranch_vccnz .LBB7_37
.LBB7_11:                               ;   Parent Loop BB7_8 Depth=1
                                        ; =>  This Loop Header: Depth=2
                                        ;       Child Loop BB7_13 Depth 3
	s_lshl_b64 s[8:9], s[4:5], 2
	s_mov_b32 s30, 0
	s_add_nc_u64 s[8:9], s[12:13], s[8:9]
	s_load_b32 s8, s[8:9], 0x0
	s_wait_kmcnt 0x0
	s_wait_xcnt 0x0
	s_sub_co_i32 s8, s8, s21
	s_delay_alu instid0(SALU_CYCLE_1) | instskip(SKIP_1) | instid1(SALU_CYCLE_1)
	v_mad_u32 v35, s8, s18, v25
	s_mul_u64 s[8:9], s[4:5], s[2:3]
	s_lshl_b64 s[8:9], s[8:9], 3
	s_delay_alu instid0(SALU_CYCLE_1)
	s_add_nc_u64 s[8:9], s[14:15], s[8:9]
	s_branch .LBB7_13
.LBB7_12:                               ;   in Loop: Header=BB7_13 Depth=3
	s_wait_xcnt 0x0
	s_or_b32 exec_lo, exec_lo, s31
	s_wait_loadcnt 0x0
	ds_store_b64 v28, v[22:23]
	s_wait_dscnt 0x0
	s_barrier_signal -1
	s_barrier_wait -1
	ds_load_2addr_b64 v[18:21], v26 offset1:32
	ds_load_b128 v[36:39], v27 offset:8192
	ds_load_b128 v[40:43], v27 offset:8208
	ds_load_2addr_b64 v[44:47], v26 offset0:64 offset1:96
	s_add_co_i32 s30, s30, 32
	s_delay_alu instid0(SALU_CYCLE_1) | instskip(SKIP_2) | instid1(VALU_DEP_1)
	s_cmp_ge_i32 s30, s18
	s_wait_dscnt 0x2
	v_pk_fma_f32 v[16:17], v[18:19], v[36:37], v[16:17] op_sel_hi:[1,0,1]
	v_pk_fma_f32 v[16:17], v[18:19], v[36:37], v[16:17] op_sel:[1,1,0] op_sel_hi:[0,1,1] neg_lo:[1,0,0]
	v_mov_b32_e32 v18, v39
	s_delay_alu instid0(VALU_DEP_2) | instskip(SKIP_2) | instid1(VALU_DEP_2)
	v_pk_fma_f32 v[16:17], v[20:21], v[38:39], v[16:17] op_sel_hi:[1,0,1]
	s_wait_dscnt 0x1
	v_mov_b32_e32 v38, v43
	v_pk_fma_f32 v[36:37], v[20:21], v[18:19], v[16:17] op_sel:[1,0,0] op_sel_hi:[0,0,1] neg_lo:[1,0,0]
	ds_load_b128 v[16:19], v27 offset:8224
	ds_load_2addr_b64 v[20:23], v26 offset0:128 offset1:160
	s_wait_dscnt 0x2
	v_pk_fma_f32 v[36:37], v[44:45], v[40:41], v[36:37] op_sel_hi:[1,0,1]
	s_delay_alu instid0(VALU_DEP_1) | instskip(NEXT) | instid1(VALU_DEP_1)
	v_pk_fma_f32 v[36:37], v[44:45], v[40:41], v[36:37] op_sel:[1,1,0] op_sel_hi:[0,1,1] neg_lo:[1,0,0]
	v_pk_fma_f32 v[36:37], v[46:47], v[42:43], v[36:37] op_sel_hi:[1,0,1]
	s_delay_alu instid0(VALU_DEP_1) | instskip(SKIP_4) | instid1(VALU_DEP_1)
	v_pk_fma_f32 v[44:45], v[46:47], v[38:39], v[36:37] op_sel:[1,0,0] op_sel_hi:[0,0,1] neg_lo:[1,0,0]
	ds_load_b128 v[36:39], v27 offset:8240
	ds_load_2addr_b64 v[40:43], v26 offset0:192 offset1:224
	s_wait_dscnt 0x2
	v_pk_fma_f32 v[44:45], v[20:21], v[16:17], v[44:45] op_sel_hi:[1,0,1]
	v_pk_fma_f32 v[16:17], v[20:21], v[16:17], v[44:45] op_sel:[1,1,0] op_sel_hi:[0,1,1] neg_lo:[1,0,0]
	v_mov_b32_e32 v20, v19
	s_delay_alu instid0(VALU_DEP_2) | instskip(NEXT) | instid1(VALU_DEP_1)
	v_pk_fma_f32 v[16:17], v[22:23], v[18:19], v[16:17] op_sel_hi:[1,0,1]
	v_pk_fma_f32 v[44:45], v[22:23], v[20:21], v[16:17] op_sel:[1,0,0] op_sel_hi:[0,0,1] neg_lo:[1,0,0]
	ds_load_b128 v[16:19], v27 offset:8256
	ds_load_2addr_b64 v[20:23], v29 offset1:32
	s_wait_dscnt 0x2
	v_pk_fma_f32 v[44:45], v[40:41], v[36:37], v[44:45] op_sel_hi:[1,0,1]
	s_delay_alu instid0(VALU_DEP_1) | instskip(SKIP_1) | instid1(VALU_DEP_2)
	v_pk_fma_f32 v[36:37], v[40:41], v[36:37], v[44:45] op_sel:[1,1,0] op_sel_hi:[0,1,1] neg_lo:[1,0,0]
	v_mov_b32_e32 v40, v39
	v_pk_fma_f32 v[36:37], v[42:43], v[38:39], v[36:37] op_sel_hi:[1,0,1]
	s_delay_alu instid0(VALU_DEP_1) | instskip(SKIP_4) | instid1(VALU_DEP_1)
	v_pk_fma_f32 v[44:45], v[42:43], v[40:41], v[36:37] op_sel:[1,0,0] op_sel_hi:[0,0,1] neg_lo:[1,0,0]
	ds_load_b128 v[36:39], v27 offset:8272
	ds_load_2addr_b64 v[40:43], v29 offset0:64 offset1:96
	s_wait_dscnt 0x2
	v_pk_fma_f32 v[44:45], v[20:21], v[16:17], v[44:45] op_sel_hi:[1,0,1]
	v_pk_fma_f32 v[16:17], v[20:21], v[16:17], v[44:45] op_sel:[1,1,0] op_sel_hi:[0,1,1] neg_lo:[1,0,0]
	v_mov_b32_e32 v20, v19
	s_delay_alu instid0(VALU_DEP_2) | instskip(NEXT) | instid1(VALU_DEP_1)
	v_pk_fma_f32 v[16:17], v[22:23], v[18:19], v[16:17] op_sel_hi:[1,0,1]
	v_pk_fma_f32 v[44:45], v[22:23], v[20:21], v[16:17] op_sel:[1,0,0] op_sel_hi:[0,0,1] neg_lo:[1,0,0]
	ds_load_b128 v[16:19], v27 offset:8288
	ds_load_2addr_b64 v[20:23], v29 offset0:128 offset1:160
	s_wait_dscnt 0x2
	v_pk_fma_f32 v[44:45], v[40:41], v[36:37], v[44:45] op_sel_hi:[1,0,1]
	s_delay_alu instid0(VALU_DEP_1) | instskip(SKIP_1) | instid1(VALU_DEP_2)
	v_pk_fma_f32 v[36:37], v[40:41], v[36:37], v[44:45] op_sel:[1,1,0] op_sel_hi:[0,1,1] neg_lo:[1,0,0]
	v_mov_b32_e32 v40, v39
	v_pk_fma_f32 v[36:37], v[42:43], v[38:39], v[36:37] op_sel_hi:[1,0,1]
	s_delay_alu instid0(VALU_DEP_1) | instskip(SKIP_4) | instid1(VALU_DEP_1)
	v_pk_fma_f32 v[44:45], v[42:43], v[40:41], v[36:37] op_sel:[1,0,0] op_sel_hi:[0,0,1] neg_lo:[1,0,0]
	ds_load_b128 v[36:39], v27 offset:8304
	ds_load_2addr_b64 v[40:43], v29 offset0:192 offset1:224
	s_wait_dscnt 0x2
	v_pk_fma_f32 v[44:45], v[20:21], v[16:17], v[44:45] op_sel_hi:[1,0,1]
	v_pk_fma_f32 v[16:17], v[20:21], v[16:17], v[44:45] op_sel:[1,1,0] op_sel_hi:[0,1,1] neg_lo:[1,0,0]
	v_mov_b32_e32 v20, v19
	s_delay_alu instid0(VALU_DEP_2) | instskip(NEXT) | instid1(VALU_DEP_1)
	v_pk_fma_f32 v[16:17], v[22:23], v[18:19], v[16:17] op_sel_hi:[1,0,1]
	v_pk_fma_f32 v[44:45], v[22:23], v[20:21], v[16:17] op_sel:[1,0,0] op_sel_hi:[0,0,1] neg_lo:[1,0,0]
	ds_load_b128 v[16:19], v27 offset:8320
	ds_load_2addr_b64 v[20:23], v30 offset1:32
	s_wait_dscnt 0x2
	v_pk_fma_f32 v[44:45], v[40:41], v[36:37], v[44:45] op_sel_hi:[1,0,1]
	s_delay_alu instid0(VALU_DEP_1) | instskip(SKIP_1) | instid1(VALU_DEP_2)
	v_pk_fma_f32 v[36:37], v[40:41], v[36:37], v[44:45] op_sel:[1,1,0] op_sel_hi:[0,1,1] neg_lo:[1,0,0]
	v_mov_b32_e32 v40, v39
	v_pk_fma_f32 v[36:37], v[42:43], v[38:39], v[36:37] op_sel_hi:[1,0,1]
	s_delay_alu instid0(VALU_DEP_1) | instskip(SKIP_4) | instid1(VALU_DEP_1)
	v_pk_fma_f32 v[44:45], v[42:43], v[40:41], v[36:37] op_sel:[1,0,0] op_sel_hi:[0,0,1] neg_lo:[1,0,0]
	ds_load_b128 v[36:39], v27 offset:8336
	ds_load_2addr_b64 v[40:43], v30 offset0:64 offset1:96
	s_wait_dscnt 0x2
	v_pk_fma_f32 v[44:45], v[20:21], v[16:17], v[44:45] op_sel_hi:[1,0,1]
	v_pk_fma_f32 v[16:17], v[20:21], v[16:17], v[44:45] op_sel:[1,1,0] op_sel_hi:[0,1,1] neg_lo:[1,0,0]
	v_mov_b32_e32 v20, v19
	s_delay_alu instid0(VALU_DEP_2) | instskip(NEXT) | instid1(VALU_DEP_1)
	v_pk_fma_f32 v[16:17], v[22:23], v[18:19], v[16:17] op_sel_hi:[1,0,1]
	v_pk_fma_f32 v[44:45], v[22:23], v[20:21], v[16:17] op_sel:[1,0,0] op_sel_hi:[0,0,1] neg_lo:[1,0,0]
	ds_load_b128 v[16:19], v27 offset:8352
	ds_load_2addr_b64 v[20:23], v30 offset0:128 offset1:160
	s_wait_dscnt 0x2
	v_pk_fma_f32 v[44:45], v[40:41], v[36:37], v[44:45] op_sel_hi:[1,0,1]
	s_delay_alu instid0(VALU_DEP_1) | instskip(SKIP_1) | instid1(VALU_DEP_2)
	v_pk_fma_f32 v[36:37], v[40:41], v[36:37], v[44:45] op_sel:[1,1,0] op_sel_hi:[0,1,1] neg_lo:[1,0,0]
	v_mov_b32_e32 v40, v39
	;; [unrolled: 38-line block ×3, first 2 shown]
	v_pk_fma_f32 v[36:37], v[42:43], v[38:39], v[36:37] op_sel_hi:[1,0,1]
	s_delay_alu instid0(VALU_DEP_1)
	v_pk_fma_f32 v[44:45], v[42:43], v[40:41], v[36:37] op_sel:[1,0,0] op_sel_hi:[0,0,1] neg_lo:[1,0,0]
	ds_load_b128 v[36:39], v27 offset:8432
	ds_load_2addr_b64 v[40:43], v32 offset0:192 offset1:224
	s_wait_dscnt 0x0
	s_barrier_signal -1
	s_barrier_wait -1
	v_pk_fma_f32 v[44:45], v[20:21], v[16:17], v[44:45] op_sel_hi:[1,0,1]
	s_delay_alu instid0(VALU_DEP_1) | instskip(SKIP_1) | instid1(VALU_DEP_2)
	v_pk_fma_f32 v[16:17], v[20:21], v[16:17], v[44:45] op_sel:[1,1,0] op_sel_hi:[0,1,1] neg_lo:[1,0,0]
	v_mov_b32_e32 v20, v19
	v_pk_fma_f32 v[16:17], v[22:23], v[18:19], v[16:17] op_sel_hi:[1,0,1]
	v_mov_b32_e32 v18, v39
	s_delay_alu instid0(VALU_DEP_2) | instskip(NEXT) | instid1(VALU_DEP_1)
	v_pk_fma_f32 v[16:17], v[22:23], v[20:21], v[16:17] op_sel:[1,0,0] op_sel_hi:[0,0,1] neg_lo:[1,0,0]
	v_pk_fma_f32 v[16:17], v[40:41], v[36:37], v[16:17] op_sel_hi:[1,0,1]
	s_delay_alu instid0(VALU_DEP_1) | instskip(NEXT) | instid1(VALU_DEP_1)
	v_pk_fma_f32 v[16:17], v[40:41], v[36:37], v[16:17] op_sel:[1,1,0] op_sel_hi:[0,1,1] neg_lo:[1,0,0]
	v_pk_fma_f32 v[16:17], v[42:43], v[38:39], v[16:17] op_sel_hi:[1,0,1]
	s_delay_alu instid0(VALU_DEP_1)
	v_pk_fma_f32 v[16:17], v[42:43], v[18:19], v[16:17] op_sel:[1,0,0] op_sel_hi:[0,0,1] neg_lo:[1,0,0]
	s_cbranch_scc1 .LBB7_10
.LBB7_13:                               ;   Parent Loop BB7_8 Depth=1
                                        ;     Parent Loop BB7_11 Depth=2
                                        ; =>    This Inner Loop Header: Depth=3
	s_mov_b32 s33, -1
	s_and_b32 vcc_lo, exec_lo, s16
	s_mov_b32 s31, 0
                                        ; implicit-def: $vgpr18_vgpr19
	s_cbranch_vccnz .LBB7_23
; %bb.14:                               ;   in Loop: Header=BB7_13 Depth=3
	s_and_b32 vcc_lo, exec_lo, s33
	s_cbranch_vccnz .LBB7_28
.LBB7_15:                               ;   in Loop: Header=BB7_13 Depth=3
	v_dual_mov_b32 v20, 0 :: v_dual_mov_b32 v21, 0
	s_and_saveexec_b32 s33, s31
	s_cbranch_execnz .LBB7_33
.LBB7_16:                               ;   in Loop: Header=BB7_13 Depth=3
	s_or_b32 exec_lo, exec_lo, s33
	s_delay_alu instid0(SALU_CYCLE_1)
	s_and_b32 vcc_lo, exec_lo, s17
	ds_store_b64 v31, v[20:21]
	s_cbranch_vccz .LBB7_34
.LBB7_17:                               ;   in Loop: Header=BB7_13 Depth=3
	s_mov_b32 s31, 0
	s_mov_b32 s33, 0
                                        ; implicit-def: $vgpr18
	s_and_saveexec_b32 s34, s1
	s_cbranch_execz .LBB7_21
; %bb.18:                               ;   in Loop: Header=BB7_13 Depth=3
	v_add_nc_u32_e32 v19, s30, v24
	s_mov_b32 s35, exec_lo
                                        ; implicit-def: $vgpr18
	s_delay_alu instid0(VALU_DEP_1)
	v_cmpx_gt_i32_e64 s18, v19
	s_xor_b32 s35, exec_lo, s35
; %bb.19:                               ;   in Loop: Header=BB7_13 Depth=3
	s_mov_b32 s33, exec_lo
	v_mul_lo_u32 v18, v19, s18
; %bb.20:                               ;   in Loop: Header=BB7_13 Depth=3
	s_or_b32 exec_lo, exec_lo, s35
	s_delay_alu instid0(SALU_CYCLE_1)
	s_and_b32 s33, s33, exec_lo
.LBB7_21:                               ;   in Loop: Header=BB7_13 Depth=3
	s_or_b32 exec_lo, exec_lo, s34
	s_delay_alu instid0(SALU_CYCLE_1)
	s_and_b32 vcc_lo, exec_lo, s31
	s_cbranch_vccz .LBB7_35
.LBB7_22:                               ;   in Loop: Header=BB7_13 Depth=3
	v_dual_add_nc_u32 v18, s30, v24 :: v_dual_mov_b32 v20, v34
	s_and_not1_b32 s33, s33, exec_lo
	s_delay_alu instid0(VALU_DEP_1) | instskip(SKIP_1) | instid1(SALU_CYCLE_1)
	v_cmp_gt_i32_e32 vcc_lo, s18, v18
	s_and_b32 s31, s1, vcc_lo
	s_and_b32 s31, s31, exec_lo
	s_delay_alu instid0(SALU_CYCLE_1)
	s_or_b32 s33, s33, s31
	v_dual_mov_b32 v22, 0 :: v_dual_mov_b32 v23, 0
	s_and_saveexec_b32 s31, s33
	s_cbranch_execz .LBB7_12
	s_branch .LBB7_36
.LBB7_23:                               ;   in Loop: Header=BB7_13 Depth=3
	s_mov_b32 s33, 0
                                        ; implicit-def: $vgpr18_vgpr19
	s_and_saveexec_b32 s34, s0
	s_cbranch_execz .LBB7_27
; %bb.24:                               ;   in Loop: Header=BB7_13 Depth=3
	v_add_nc_u32_e32 v18, s30, v25
	s_delay_alu instid0(VALU_DEP_1) | instskip(SKIP_1) | instid1(SALU_CYCLE_1)
	v_cmp_gt_i32_e32 vcc_lo, s18, v18
                                        ; implicit-def: $vgpr18_vgpr19
	s_and_saveexec_b32 s35, vcc_lo
	s_xor_b32 s35, exec_lo, s35
	s_cbranch_execz .LBB7_26
; %bb.25:                               ;   in Loop: Header=BB7_13 Depth=3
	v_add_nc_u32_e32 v18, s30, v35
	s_mov_b32 s31, exec_lo
	s_delay_alu instid0(VALU_DEP_1) | instskip(NEXT) | instid1(VALU_DEP_1)
	v_ashrrev_i32_e32 v19, 31, v18
	v_mul_u64_e32 v[18:19], s[10:11], v[18:19]
	s_delay_alu instid0(VALU_DEP_1)
	v_lshl_add_u64 v[18:19], v[18:19], 3, v[8:9]
.LBB7_26:                               ;   in Loop: Header=BB7_13 Depth=3
	s_or_b32 exec_lo, exec_lo, s35
	s_delay_alu instid0(SALU_CYCLE_1)
	s_and_b32 s31, s31, exec_lo
.LBB7_27:                               ;   in Loop: Header=BB7_13 Depth=3
	s_or_b32 exec_lo, exec_lo, s34
	s_delay_alu instid0(SALU_CYCLE_1)
	s_and_b32 vcc_lo, exec_lo, s33
	s_cbranch_vccz .LBB7_15
.LBB7_28:                               ;   in Loop: Header=BB7_13 Depth=3
                                        ; implicit-def: $vgpr18_vgpr19
	s_and_saveexec_b32 s33, s0
	s_cbranch_execz .LBB7_32
; %bb.29:                               ;   in Loop: Header=BB7_13 Depth=3
	v_add_nc_u32_e32 v18, s30, v25
	s_mov_b32 s35, s31
	s_delay_alu instid0(VALU_DEP_1)
	v_cmp_gt_i32_e32 vcc_lo, s18, v18
                                        ; implicit-def: $vgpr18_vgpr19
	s_and_saveexec_b32 s34, vcc_lo
; %bb.30:                               ;   in Loop: Header=BB7_13 Depth=3
	v_add_nc_u32_e32 v18, s30, v35
	s_or_b32 s35, s31, exec_lo
	s_delay_alu instid0(VALU_DEP_1) | instskip(NEXT) | instid1(VALU_DEP_1)
	v_ashrrev_i32_e32 v19, 31, v18
	v_lshl_add_u64 v[18:19], v[18:19], 3, v[12:13]
; %bb.31:                               ;   in Loop: Header=BB7_13 Depth=3
	s_or_b32 exec_lo, exec_lo, s34
	s_delay_alu instid0(SALU_CYCLE_1) | instskip(SKIP_1) | instid1(SALU_CYCLE_1)
	s_and_not1_b32 s31, s31, exec_lo
	s_and_b32 s34, s35, exec_lo
	s_or_b32 s31, s31, s34
.LBB7_32:                               ;   in Loop: Header=BB7_13 Depth=3
	s_or_b32 exec_lo, exec_lo, s33
	v_dual_mov_b32 v20, 0 :: v_dual_mov_b32 v21, 0
	s_and_saveexec_b32 s33, s31
	s_cbranch_execz .LBB7_16
.LBB7_33:                               ;   in Loop: Header=BB7_13 Depth=3
	global_load_b64 v[20:21], v[18:19], off
	s_wait_xcnt 0x0
	s_or_b32 exec_lo, exec_lo, s33
	s_delay_alu instid0(SALU_CYCLE_1)
	s_and_b32 vcc_lo, exec_lo, s17
	s_wait_loadcnt 0x0
	ds_store_b64 v31, v[20:21]
	s_cbranch_vccnz .LBB7_17
.LBB7_34:                               ;   in Loop: Header=BB7_13 Depth=3
	s_mov_b32 s33, 0
                                        ; implicit-def: $vgpr18
	s_cbranch_execnz .LBB7_22
.LBB7_35:                               ;   in Loop: Header=BB7_13 Depth=3
	v_dual_mov_b32 v20, v33 :: v_dual_mov_b32 v22, 0
	v_mov_b32_e32 v23, 0
	s_and_saveexec_b32 s31, s33
	s_cbranch_execz .LBB7_12
.LBB7_36:                               ;   in Loop: Header=BB7_13 Depth=3
	s_delay_alu instid0(VALU_DEP_2) | instskip(NEXT) | instid1(VALU_DEP_1)
	v_dual_ashrrev_i32 v21, 31, v20 :: v_dual_ashrrev_i32 v19, 31, v18
	v_lshl_add_u64 v[20:21], v[20:21], 3, s[8:9]
	s_delay_alu instid0(VALU_DEP_1)
	v_lshl_add_u64 v[18:19], v[18:19], 3, v[20:21]
	global_load_b64 v[22:23], v[18:19], off
	s_branch .LBB7_12
.LBB7_37:                               ;   in Loop: Header=BB7_8 Depth=1
	v_cmp_gt_i32_e32 vcc_lo, s18, v33
	s_and_b32 s4, s28, vcc_lo
	s_delay_alu instid0(SALU_CYCLE_1)
	s_and_saveexec_b32 s1, s4
	s_cbranch_execz .LBB7_7
; %bb.38:                               ;   in Loop: Header=BB7_8 Depth=1
	v_add_nc_u32_e32 v18, s26, v33
	s_delay_alu instid0(VALU_DEP_1) | instskip(SKIP_1) | instid1(SALU_CYCLE_1)
	v_ashrrev_i32_e32 v19, 31, v18
	s_and_saveexec_b32 s4, s19
	s_xor_b32 s4, exec_lo, s4
	s_cbranch_execz .LBB7_43
; %bb.39:                               ;   in Loop: Header=BB7_8 Depth=1
	s_and_b32 vcc_lo, exec_lo, s20
	s_mov_b32 s5, -1
	s_cbranch_vccz .LBB7_41
; %bb.40:                               ;   in Loop: Header=BB7_8 Depth=1
	v_mul_u64_e32 v[20:21], s[6:7], v[18:19]
	v_pk_mul_f32 v[34:35], v[16:17], v[0:1] op_sel:[1,0]
	s_mov_b32 s5, 0
	s_delay_alu instid0(VALU_DEP_1) | instskip(NEXT) | instid1(VALU_DEP_3)
	v_pk_fma_f32 v[34:35], v[2:3], v[16:17], v[34:35] op_sel_hi:[1,0,1]
	v_lshl_add_u64 v[20:21], v[20:21], 3, v[10:11]
	global_load_b64 v[22:23], v[20:21], off
	s_wait_loadcnt 0x0
	v_pk_fma_f32 v[34:35], v[4:5], v[22:23], v[34:35] op_sel_hi:[1,0,1]
	s_delay_alu instid0(VALU_DEP_1)
	v_pk_fma_f32 v[22:23], v[6:7], v[22:23], v[34:35] op_sel:[0,1,0]
	global_store_b64 v[20:21], v[22:23], off
.LBB7_41:                               ;   in Loop: Header=BB7_8 Depth=1
	s_and_not1_b32 vcc_lo, exec_lo, s5
	s_cbranch_vccnz .LBB7_43
; %bb.42:                               ;   in Loop: Header=BB7_8 Depth=1
	v_lshl_add_u64 v[18:19], v[18:19], 3, v[14:15]
	s_wait_xcnt 0x0
	v_pk_mul_f32 v[22:23], v[16:17], v[0:1] op_sel:[1,0]
	global_load_b64 v[20:21], v[18:19], off
	v_pk_fma_f32 v[16:17], v[2:3], v[16:17], v[22:23] op_sel_hi:[1,0,1]
	s_wait_loadcnt 0x0
	s_delay_alu instid0(VALU_DEP_1) | instskip(NEXT) | instid1(VALU_DEP_1)
	v_pk_fma_f32 v[16:17], v[4:5], v[20:21], v[16:17] op_sel_hi:[1,0,1]
	v_pk_fma_f32 v[16:17], v[6:7], v[20:21], v[16:17] op_sel:[0,1,0]
	global_store_b64 v[18:19], v[16:17], off
                                        ; implicit-def: $vgpr16_vgpr17
                                        ; implicit-def: $vgpr18
.LBB7_43:                               ;   in Loop: Header=BB7_8 Depth=1
	s_wait_xcnt 0x0
	s_and_not1_saveexec_b32 s4, s4
	s_cbranch_execz .LBB7_7
; %bb.44:                               ;   in Loop: Header=BB7_8 Depth=1
	v_pk_mul_f32 v[20:21], v[16:17], v[0:1] op_sel:[1,0]
	s_and_b32 vcc_lo, exec_lo, s20
	s_mov_b32 s4, -1
	s_delay_alu instid0(VALU_DEP_1)
	v_pk_fma_f32 v[16:17], v[2:3], v[16:17], v[20:21] op_sel_hi:[1,0,1]
	s_cbranch_vccz .LBB7_46
; %bb.45:                               ;   in Loop: Header=BB7_8 Depth=1
	v_mul_u64_e32 v[20:21], s[6:7], v[18:19]
	s_mov_b32 s4, 0
	s_delay_alu instid0(VALU_DEP_1)
	v_lshl_add_u64 v[20:21], v[20:21], 3, v[10:11]
	global_store_b64 v[20:21], v[16:17], off
.LBB7_46:                               ;   in Loop: Header=BB7_8 Depth=1
	s_and_not1_b32 vcc_lo, exec_lo, s4
	s_cbranch_vccnz .LBB7_7
; %bb.47:                               ;   in Loop: Header=BB7_8 Depth=1
	v_lshl_add_u64 v[18:19], v[18:19], 3, v[14:15]
	global_store_b64 v[18:19], v[16:17], off
	s_branch .LBB7_7
.LBB7_48:
	s_endpgm
	.section	.rodata,"a",@progbits
	.p2align	6, 0x0
	.amdhsa_kernel _ZN9rocsparseL29bsrmm_general_blockdim_kernelILj32ELj32Eli21rocsparse_complex_numIfES2_S2_S2_EEvb20rocsparse_direction_T2_S4_llNS_24const_host_device_scalarIT6_EEPKT1_PKS4_PKT3_S4_PKT4_llS7_PT5_ll16rocsparse_order_21rocsparse_index_base_b
		.amdhsa_group_segment_fixed_size 16384
		.amdhsa_private_segment_fixed_size 0
		.amdhsa_kernarg_size 140
		.amdhsa_user_sgpr_count 2
		.amdhsa_user_sgpr_dispatch_ptr 0
		.amdhsa_user_sgpr_queue_ptr 0
		.amdhsa_user_sgpr_kernarg_segment_ptr 1
		.amdhsa_user_sgpr_dispatch_id 0
		.amdhsa_user_sgpr_kernarg_preload_length 0
		.amdhsa_user_sgpr_kernarg_preload_offset 0
		.amdhsa_user_sgpr_private_segment_size 0
		.amdhsa_wavefront_size32 1
		.amdhsa_uses_dynamic_stack 0
		.amdhsa_enable_private_segment 0
		.amdhsa_system_sgpr_workgroup_id_x 1
		.amdhsa_system_sgpr_workgroup_id_y 1
		.amdhsa_system_sgpr_workgroup_id_z 0
		.amdhsa_system_sgpr_workgroup_info 0
		.amdhsa_system_vgpr_workitem_id 1
		.amdhsa_next_free_vgpr 48
		.amdhsa_next_free_sgpr 36
		.amdhsa_named_barrier_count 0
		.amdhsa_reserve_vcc 1
		.amdhsa_float_round_mode_32 0
		.amdhsa_float_round_mode_16_64 0
		.amdhsa_float_denorm_mode_32 3
		.amdhsa_float_denorm_mode_16_64 3
		.amdhsa_fp16_overflow 0
		.amdhsa_memory_ordered 1
		.amdhsa_forward_progress 1
		.amdhsa_inst_pref_size 22
		.amdhsa_round_robin_scheduling 0
		.amdhsa_exception_fp_ieee_invalid_op 0
		.amdhsa_exception_fp_denorm_src 0
		.amdhsa_exception_fp_ieee_div_zero 0
		.amdhsa_exception_fp_ieee_overflow 0
		.amdhsa_exception_fp_ieee_underflow 0
		.amdhsa_exception_fp_ieee_inexact 0
		.amdhsa_exception_int_div_zero 0
	.end_amdhsa_kernel
	.section	.text._ZN9rocsparseL29bsrmm_general_blockdim_kernelILj32ELj32Eli21rocsparse_complex_numIfES2_S2_S2_EEvb20rocsparse_direction_T2_S4_llNS_24const_host_device_scalarIT6_EEPKT1_PKS4_PKT3_S4_PKT4_llS7_PT5_ll16rocsparse_order_21rocsparse_index_base_b,"axG",@progbits,_ZN9rocsparseL29bsrmm_general_blockdim_kernelILj32ELj32Eli21rocsparse_complex_numIfES2_S2_S2_EEvb20rocsparse_direction_T2_S4_llNS_24const_host_device_scalarIT6_EEPKT1_PKS4_PKT3_S4_PKT4_llS7_PT5_ll16rocsparse_order_21rocsparse_index_base_b,comdat
.Lfunc_end7:
	.size	_ZN9rocsparseL29bsrmm_general_blockdim_kernelILj32ELj32Eli21rocsparse_complex_numIfES2_S2_S2_EEvb20rocsparse_direction_T2_S4_llNS_24const_host_device_scalarIT6_EEPKT1_PKS4_PKT3_S4_PKT4_llS7_PT5_ll16rocsparse_order_21rocsparse_index_base_b, .Lfunc_end7-_ZN9rocsparseL29bsrmm_general_blockdim_kernelILj32ELj32Eli21rocsparse_complex_numIfES2_S2_S2_EEvb20rocsparse_direction_T2_S4_llNS_24const_host_device_scalarIT6_EEPKT1_PKS4_PKT3_S4_PKT4_llS7_PT5_ll16rocsparse_order_21rocsparse_index_base_b
                                        ; -- End function
	.set _ZN9rocsparseL29bsrmm_general_blockdim_kernelILj32ELj32Eli21rocsparse_complex_numIfES2_S2_S2_EEvb20rocsparse_direction_T2_S4_llNS_24const_host_device_scalarIT6_EEPKT1_PKS4_PKT3_S4_PKT4_llS7_PT5_ll16rocsparse_order_21rocsparse_index_base_b.num_vgpr, 48
	.set _ZN9rocsparseL29bsrmm_general_blockdim_kernelILj32ELj32Eli21rocsparse_complex_numIfES2_S2_S2_EEvb20rocsparse_direction_T2_S4_llNS_24const_host_device_scalarIT6_EEPKT1_PKS4_PKT3_S4_PKT4_llS7_PT5_ll16rocsparse_order_21rocsparse_index_base_b.num_agpr, 0
	.set _ZN9rocsparseL29bsrmm_general_blockdim_kernelILj32ELj32Eli21rocsparse_complex_numIfES2_S2_S2_EEvb20rocsparse_direction_T2_S4_llNS_24const_host_device_scalarIT6_EEPKT1_PKS4_PKT3_S4_PKT4_llS7_PT5_ll16rocsparse_order_21rocsparse_index_base_b.numbered_sgpr, 36
	.set _ZN9rocsparseL29bsrmm_general_blockdim_kernelILj32ELj32Eli21rocsparse_complex_numIfES2_S2_S2_EEvb20rocsparse_direction_T2_S4_llNS_24const_host_device_scalarIT6_EEPKT1_PKS4_PKT3_S4_PKT4_llS7_PT5_ll16rocsparse_order_21rocsparse_index_base_b.num_named_barrier, 0
	.set _ZN9rocsparseL29bsrmm_general_blockdim_kernelILj32ELj32Eli21rocsparse_complex_numIfES2_S2_S2_EEvb20rocsparse_direction_T2_S4_llNS_24const_host_device_scalarIT6_EEPKT1_PKS4_PKT3_S4_PKT4_llS7_PT5_ll16rocsparse_order_21rocsparse_index_base_b.private_seg_size, 0
	.set _ZN9rocsparseL29bsrmm_general_blockdim_kernelILj32ELj32Eli21rocsparse_complex_numIfES2_S2_S2_EEvb20rocsparse_direction_T2_S4_llNS_24const_host_device_scalarIT6_EEPKT1_PKS4_PKT3_S4_PKT4_llS7_PT5_ll16rocsparse_order_21rocsparse_index_base_b.uses_vcc, 1
	.set _ZN9rocsparseL29bsrmm_general_blockdim_kernelILj32ELj32Eli21rocsparse_complex_numIfES2_S2_S2_EEvb20rocsparse_direction_T2_S4_llNS_24const_host_device_scalarIT6_EEPKT1_PKS4_PKT3_S4_PKT4_llS7_PT5_ll16rocsparse_order_21rocsparse_index_base_b.uses_flat_scratch, 1
	.set _ZN9rocsparseL29bsrmm_general_blockdim_kernelILj32ELj32Eli21rocsparse_complex_numIfES2_S2_S2_EEvb20rocsparse_direction_T2_S4_llNS_24const_host_device_scalarIT6_EEPKT1_PKS4_PKT3_S4_PKT4_llS7_PT5_ll16rocsparse_order_21rocsparse_index_base_b.has_dyn_sized_stack, 0
	.set _ZN9rocsparseL29bsrmm_general_blockdim_kernelILj32ELj32Eli21rocsparse_complex_numIfES2_S2_S2_EEvb20rocsparse_direction_T2_S4_llNS_24const_host_device_scalarIT6_EEPKT1_PKS4_PKT3_S4_PKT4_llS7_PT5_ll16rocsparse_order_21rocsparse_index_base_b.has_recursion, 0
	.set _ZN9rocsparseL29bsrmm_general_blockdim_kernelILj32ELj32Eli21rocsparse_complex_numIfES2_S2_S2_EEvb20rocsparse_direction_T2_S4_llNS_24const_host_device_scalarIT6_EEPKT1_PKS4_PKT3_S4_PKT4_llS7_PT5_ll16rocsparse_order_21rocsparse_index_base_b.has_indirect_call, 0
	.section	.AMDGPU.csdata,"",@progbits
; Kernel info:
; codeLenInByte = 2760
; TotalNumSgprs: 38
; NumVgprs: 48
; ScratchSize: 0
; MemoryBound: 0
; FloatMode: 240
; IeeeMode: 1
; LDSByteSize: 16384 bytes/workgroup (compile time only)
; SGPRBlocks: 0
; VGPRBlocks: 2
; NumSGPRsForWavesPerEU: 38
; NumVGPRsForWavesPerEU: 48
; NamedBarCnt: 0
; Occupancy: 16
; WaveLimiterHint : 0
; COMPUTE_PGM_RSRC2:SCRATCH_EN: 0
; COMPUTE_PGM_RSRC2:USER_SGPR: 2
; COMPUTE_PGM_RSRC2:TRAP_HANDLER: 0
; COMPUTE_PGM_RSRC2:TGID_X_EN: 1
; COMPUTE_PGM_RSRC2:TGID_Y_EN: 1
; COMPUTE_PGM_RSRC2:TGID_Z_EN: 0
; COMPUTE_PGM_RSRC2:TIDIG_COMP_CNT: 1
	.section	.text._ZN9rocsparseL29bsrmm_general_blockdim_kernelILj32ELj32Ell21rocsparse_complex_numIfES2_S2_S2_EEvb20rocsparse_direction_T2_S4_llNS_24const_host_device_scalarIT6_EEPKT1_PKS4_PKT3_S4_PKT4_llS7_PT5_ll16rocsparse_order_21rocsparse_index_base_b,"axG",@progbits,_ZN9rocsparseL29bsrmm_general_blockdim_kernelILj32ELj32Ell21rocsparse_complex_numIfES2_S2_S2_EEvb20rocsparse_direction_T2_S4_llNS_24const_host_device_scalarIT6_EEPKT1_PKS4_PKT3_S4_PKT4_llS7_PT5_ll16rocsparse_order_21rocsparse_index_base_b,comdat
	.globl	_ZN9rocsparseL29bsrmm_general_blockdim_kernelILj32ELj32Ell21rocsparse_complex_numIfES2_S2_S2_EEvb20rocsparse_direction_T2_S4_llNS_24const_host_device_scalarIT6_EEPKT1_PKS4_PKT3_S4_PKT4_llS7_PT5_ll16rocsparse_order_21rocsparse_index_base_b ; -- Begin function _ZN9rocsparseL29bsrmm_general_blockdim_kernelILj32ELj32Ell21rocsparse_complex_numIfES2_S2_S2_EEvb20rocsparse_direction_T2_S4_llNS_24const_host_device_scalarIT6_EEPKT1_PKS4_PKT3_S4_PKT4_llS7_PT5_ll16rocsparse_order_21rocsparse_index_base_b
	.p2align	8
	.type	_ZN9rocsparseL29bsrmm_general_blockdim_kernelILj32ELj32Ell21rocsparse_complex_numIfES2_S2_S2_EEvb20rocsparse_direction_T2_S4_llNS_24const_host_device_scalarIT6_EEPKT1_PKS4_PKT3_S4_PKT4_llS7_PT5_ll16rocsparse_order_21rocsparse_index_base_b,@function
_ZN9rocsparseL29bsrmm_general_blockdim_kernelILj32ELj32Ell21rocsparse_complex_numIfES2_S2_S2_EEvb20rocsparse_direction_T2_S4_llNS_24const_host_device_scalarIT6_EEPKT1_PKS4_PKT3_S4_PKT4_llS7_PT5_ll16rocsparse_order_21rocsparse_index_base_b: ; @_ZN9rocsparseL29bsrmm_general_blockdim_kernelILj32ELj32Ell21rocsparse_complex_numIfES2_S2_S2_EEvb20rocsparse_direction_T2_S4_llNS_24const_host_device_scalarIT6_EEPKT1_PKS4_PKT3_S4_PKT4_llS7_PT5_ll16rocsparse_order_21rocsparse_index_base_b
; %bb.0:
	s_clause 0x2
	s_load_b96 s[16:18], s[0:1], 0x88
	s_load_b64 s[2:3], s[0:1], 0x28
	s_load_b64 s[4:5], s[0:1], 0x68
	v_mov_b32_e32 v1, 0
	s_add_nc_u64 s[6:7], s[0:1], 40
	s_add_nc_u64 s[8:9], s[0:1], 0x68
	s_wait_kmcnt 0x0
	s_bitcmp1_b32 s18, 0
	s_cselect_b32 s3, s7, s3
	s_cselect_b32 s2, s6, s2
	;; [unrolled: 1-line block ×4, first 2 shown]
	s_clause 0x1
	flat_load_b64 v[2:3], v1, s[2:3]
	flat_load_b64 v[4:5], v1, s[4:5]
	s_wait_loadcnt_dscnt 0x101
	v_cmp_eq_f32_e32 vcc_lo, 0, v2
	v_cmp_eq_f32_e64 s2, 0, v3
	s_wait_loadcnt_dscnt 0x0
	v_cmp_eq_f32_e64 s4, 1.0, v4
	v_cmp_eq_f32_e64 s3, 0, v5
	s_and_b32 s2, vcc_lo, s2
	s_and_b32 s4, s4, s3
	s_delay_alu instid0(SALU_CYCLE_1) | instskip(NEXT) | instid1(SALU_CYCLE_1)
	s_and_b32 s2, s2, s4
	s_xor_b32 s2, s2, -1
	s_delay_alu instid0(SALU_CYCLE_1)
	s_and_saveexec_b32 s4, s2
	s_cbranch_execz .LBB8_48
; %bb.1:
	s_clause 0x1
	s_load_b128 s[12:15], s[0:1], 0x8
	s_load_b64 s[4:5], s[0:1], 0x30
	s_bfe_u32 s2, ttmp6, 0x4000c
	s_and_b32 s6, ttmp6, 15
	s_add_co_i32 s2, s2, 1
	s_mov_b64 s[18:19], 0
	s_mul_i32 s7, ttmp9, s2
	s_getreg_b32 s2, hwreg(HW_REG_IB_STS2, 6, 4)
	s_add_co_i32 s6, s6, s7
	s_cmp_eq_u32 s2, 0
	s_mov_b64 s[20:21], 0
	s_cselect_b32 s28, ttmp9, s6
	s_delay_alu instid0(SALU_CYCLE_1)
	s_ashr_i32 s29, s28, 31
	s_wait_kmcnt 0x0
	v_cmp_le_i64_e64 s6, s[12:13], s[28:29]
	v_cmp_gt_i64_e64 s30, s[12:13], s[28:29]
	s_and_b32 vcc_lo, exec_lo, s6
	s_cbranch_vccz .LBB8_4
; %bb.2:
	s_and_not1_b32 vcc_lo, exec_lo, s30
	s_cbranch_vccz .LBB8_5
.LBB8_3:
	s_load_b64 s[22:23], s[0:1], 0x48
	s_wait_kmcnt 0x0
	v_cmp_lt_i64_e64 s4, s[22:23], 1
	s_and_b32 vcc_lo, exec_lo, s4
	s_cbranch_vccz .LBB8_6
	s_branch .LBB8_48
.LBB8_4:
	s_lshl_b64 s[6:7], s[28:29], 3
	s_mov_b32 s9, 0
	s_add_nc_u64 s[6:7], s[4:5], s[6:7]
	s_mov_b32 s8, s17
	s_load_b64 s[6:7], s[6:7], 0x0
	s_wait_kmcnt 0x0
	s_sub_nc_u64 s[20:21], s[6:7], s[8:9]
	s_and_not1_b32 vcc_lo, exec_lo, s30
	s_cbranch_vccnz .LBB8_3
.LBB8_5:
	s_lshl_b64 s[6:7], s[28:29], 3
	s_delay_alu instid0(SALU_CYCLE_1)
	s_add_nc_u64 s[4:5], s[4:5], s[6:7]
	s_mov_b32 s7, 0
	s_load_b64 s[4:5], s[4:5], 0x8
	s_mov_b32 s6, s17
	s_wait_kmcnt 0x0
	s_sub_nc_u64 s[18:19], s[4:5], s[6:7]
	s_load_b64 s[22:23], s[0:1], 0x48
	s_wait_kmcnt 0x0
	v_cmp_lt_i64_e64 s4, s[22:23], 1
	s_and_b32 vcc_lo, exec_lo, s4
	s_cbranch_vccnz .LBB8_48
.LBB8_6:
	s_clause 0x1
	s_load_b128 s[4:7], s[0:1], 0x70
	s_load_b128 s[8:11], s[0:1], 0x50
	s_bfe_u32 s12, ttmp6, 0x40010
	s_bfe_u32 s13, ttmp6, 0x40004
	s_add_co_i32 s12, s12, 1
	v_bfe_u32 v6, v0, 10, 10
	s_mul_i32 s12, ttmp7, s12
	v_and_b32_e32 v0, 0x3ff, v0
	s_add_co_i32 s13, s13, s12
	v_mov_b32_e32 v15, 0
	s_cmp_eq_u32 s2, 0
	s_load_b64 s[34:35], s[0:1], 0x0
	s_cselect_b32 s2, ttmp7, s13
	v_lshlrev_b32_e32 v8, 3, v0
	v_lshl_add_u32 v14, s2, 5, v6
	v_mov_b32_e32 v9, v15
	s_mul_u64 s[12:13], s[20:21], s[22:23]
	s_mov_b32 s24, s17
	v_cmp_neq_f32_e32 vcc_lo, 0, v4
	v_lshlrev_b64_e32 v[16:17], 3, v[14:15]
	v_cmp_gt_i64_e64 s2, s[14:15], v[14:15]
	s_wait_kmcnt 0x0
	v_mul_u64_e32 v[18:19], s[6:7], v[14:15]
	v_mul_u64_e32 v[20:21], s[10:11], v[14:15]
	v_lshlrev_b32_e32 v14, 3, v6
	v_lshl_add_u64 v[22:23], s[12:13], 3, v[8:9]
	s_load_b128 s[12:15], s[0:1], 0x38
	s_wait_xcnt 0x0
	s_mov_b64 s[0:1], 0xffffffff
	v_dual_mov_b32 v1, v15 :: v_dual_lshlrev_b32 v42, 8, v6
	v_mad_nc_u64_u32 v[24:25], s22, v22, v[14:15]
	v_or_b32_e32 v26, 0x2000, v8
	s_bitcmp1_b32 s34, 0
	v_mov_b32_e32 v7, v15
	s_cselect_b32 s17, -1, 0
	s_and_b64 s[28:29], s[28:29], s[0:1]
	s_xor_b32 s1, s17, -1
	s_cmp_lg_u32 s35, 0
	v_add_nc_u64_e32 v[14:15], s[4:5], v[16:17]
	v_add_nc_u64_e32 v[16:17], s[8:9], v[16:17]
	s_cselect_b32 s33, -1, 0
	v_mad_u32 v22, s23, v22, v25
	s_xor_b32 s0, s3, -1
	v_cmp_lt_i64_e64 s42, s[20:21], s[18:19]
	v_xor_b32_e32 v10, 0x80000000, v3
	v_xor_b32_e32 v12, 0x80000000, v5
	v_dual_mov_b32 v11, v2 :: v_dual_mov_b32 v13, v4
	s_and_b32 s3, s30, s2
	s_or_b32 s40, vcc_lo, s0
	v_add_nc_u32_e32 v43, v8, v42
	v_add_nc_u32_e32 v44, 0x800, v8
	v_mad_u32 v25, s22, v23, v22
	v_add_nc_u32_e32 v45, 0x1000, v8
	v_lshl_add_u64 v[18:19], v[18:19], 3, s[4:5]
	v_lshl_add_u64 v[20:21], v[20:21], 3, v[8:9]
	v_add_nc_u32_e32 v9, v26, v42
	v_add_nc_u32_e32 v46, 0x1800, v8
	s_mul_u64 s[26:27], s[22:23], s[22:23]
	s_cmp_lg_u32 s16, 1
	v_add_nc_u64_e32 v[20:21], s[8:9], v[20:21]
	s_mov_b32 s25, 0
	s_mul_u64 s[16:17], s[22:23], s[28:29]
	s_wait_kmcnt 0x0
	v_add_nc_u64_e32 v[22:23], s[14:15], v[24:25]
	s_cselect_b32 s41, -1, 0
	s_lshl_b64 s[4:5], s[22:23], 3
	s_lshl_b64 s[8:9], s[22:23], 8
	;; [unrolled: 1-line block ×3, first 2 shown]
	s_mov_b64 s[30:31], 0
	s_branch .LBB8_8
.LBB8_7:                                ;   in Loop: Header=BB8_8 Depth=1
	s_wait_xcnt 0x0
	s_or_b32 exec_lo, exec_lo, s0
	s_add_nc_u64 s[30:31], s[30:31], 32
	v_add_nc_u64_e32 v[22:23], s[8:9], v[22:23]
	v_cmp_lt_i64_e64 s0, s[30:31], s[22:23]
	s_and_b32 vcc_lo, exec_lo, s0
	s_cbranch_vccz .LBB8_48
.LBB8_8:                                ; =>This Loop Header: Depth=1
                                        ;     Child Loop BB8_11 Depth 2
                                        ;       Child Loop BB8_13 Depth 3
	v_add_nc_u64_e32 v[24:25], s[30:31], v[0:1]
	v_dual_mov_b32 v37, 0 :: v_dual_mov_b32 v36, 0
	s_and_not1_b32 vcc_lo, exec_lo, s42
	s_delay_alu instid0(VALU_DEP_2)
	v_cmp_gt_i64_e64 s0, s[22:23], v[24:25]
	s_cbranch_vccnz .LBB8_37
; %bb.9:                                ;   in Loop: Header=BB8_8 Depth=1
	v_mov_b64_e32 v[36:37], 0
	v_mov_b64_e32 v[28:29], v[22:23]
	v_lshl_add_u64 v[26:27], v[24:25], 3, s[14:15]
	s_mov_b64 s[34:35], s[20:21]
	s_branch .LBB8_11
.LBB8_10:                               ;   in Loop: Header=BB8_11 Depth=2
	s_add_nc_u64 s[34:35], s[34:35], 1
	v_add_nc_u64_e32 v[28:29], s[28:29], v[28:29]
	v_cmp_ge_i64_e64 s36, s[34:35], s[18:19]
	s_and_b32 vcc_lo, exec_lo, s36
	s_cbranch_vccnz .LBB8_37
.LBB8_11:                               ;   Parent Loop BB8_8 Depth=1
                                        ; =>  This Loop Header: Depth=2
                                        ;       Child Loop BB8_13 Depth 3
	s_lshl_b64 s[36:37], s[34:35], 3
	s_mul_u64 s[38:39], s[26:27], s[34:35]
	s_add_nc_u64 s[36:37], s[12:13], s[36:37]
	v_mov_b64_e32 v[34:35], v[28:29]
	s_load_b64 s[36:37], s[36:37], 0x0
	v_lshl_add_u64 v[32:33], s[38:39], 3, v[26:27]
	s_mov_b64 s[38:39], 0
	s_wait_kmcnt 0x0
	s_wait_xcnt 0x0
	s_sub_nc_u64 s[36:37], s[36:37], s[24:25]
	s_delay_alu instid0(SALU_CYCLE_1) | instskip(SKIP_3) | instid1(VALU_DEP_1)
	v_mad_nc_u64_u32 v[30:31], s4, s36, v[20:21]
	s_mul_i32 s43, s5, s36
	s_mul_i32 s44, s4, s37
	s_mul_u64 s[36:37], s[36:37], s[22:23]
	v_add3_u32 v31, s44, s43, v31
	s_branch .LBB8_13
.LBB8_12:                               ;   in Loop: Header=BB8_13 Depth=3
	s_wait_xcnt 0x0
	s_or_b32 exec_lo, exec_lo, s44
	s_wait_loadcnt 0x0
	ds_store_b64 v43, v[40:41]
	s_wait_dscnt 0x0
	s_barrier_signal -1
	s_barrier_wait -1
	ds_load_2addr_b64 v[38:41], v8 offset1:32
	ds_load_b128 v[48:51], v42 offset:8192
	ds_load_b128 v[52:55], v42 offset:8208
	ds_load_2addr_b64 v[56:59], v8 offset0:64 offset1:96
	s_add_nc_u64 s[38:39], s[38:39], 32
	v_add_nc_u64_e32 v[30:31], 0x100, v[30:31]
	v_cmp_ge_i64_e64 s43, s[38:39], s[22:23]
	v_add_nc_u64_e32 v[34:35], 0x100, v[34:35]
	s_and_b32 vcc_lo, exec_lo, s43
	s_wait_dscnt 0x2
	v_pk_fma_f32 v[36:37], v[38:39], v[48:49], v[36:37] op_sel_hi:[1,0,1]
	s_delay_alu instid0(VALU_DEP_1) | instskip(SKIP_1) | instid1(VALU_DEP_2)
	v_pk_fma_f32 v[36:37], v[38:39], v[48:49], v[36:37] op_sel:[1,1,0] op_sel_hi:[0,1,1] neg_lo:[1,0,0]
	v_mov_b32_e32 v38, v51
	v_pk_fma_f32 v[36:37], v[40:41], v[50:51], v[36:37] op_sel_hi:[1,0,1]
	s_delay_alu instid0(VALU_DEP_1) | instskip(SKIP_4) | instid1(VALU_DEP_1)
	v_pk_fma_f32 v[40:41], v[40:41], v[38:39], v[36:37] op_sel:[1,0,0] op_sel_hi:[0,0,1] neg_lo:[1,0,0]
	ds_load_b128 v[36:39], v42 offset:8224
	ds_load_2addr_b64 v[48:51], v8 offset0:128 offset1:160
	s_wait_dscnt 0x2
	v_pk_fma_f32 v[40:41], v[56:57], v[52:53], v[40:41] op_sel_hi:[1,0,1]
	v_pk_fma_f32 v[40:41], v[56:57], v[52:53], v[40:41] op_sel:[1,1,0] op_sel_hi:[0,1,1] neg_lo:[1,0,0]
	v_mov_b32_e32 v52, v55
	s_delay_alu instid0(VALU_DEP_2) | instskip(NEXT) | instid1(VALU_DEP_1)
	v_pk_fma_f32 v[40:41], v[58:59], v[54:55], v[40:41] op_sel_hi:[1,0,1]
	v_pk_fma_f32 v[40:41], v[58:59], v[52:53], v[40:41] op_sel:[1,0,0] op_sel_hi:[0,0,1] neg_lo:[1,0,0]
	ds_load_b128 v[52:55], v42 offset:8240
	ds_load_2addr_b64 v[56:59], v8 offset0:192 offset1:224
	s_wait_dscnt 0x2
	v_pk_fma_f32 v[40:41], v[48:49], v[36:37], v[40:41] op_sel_hi:[1,0,1]
	s_delay_alu instid0(VALU_DEP_1) | instskip(SKIP_1) | instid1(VALU_DEP_2)
	v_pk_fma_f32 v[36:37], v[48:49], v[36:37], v[40:41] op_sel:[1,1,0] op_sel_hi:[0,1,1] neg_lo:[1,0,0]
	v_mov_b32_e32 v40, v39
	v_pk_fma_f32 v[36:37], v[50:51], v[38:39], v[36:37] op_sel_hi:[1,0,1]
	s_delay_alu instid0(VALU_DEP_1) | instskip(SKIP_4) | instid1(VALU_DEP_1)
	v_pk_fma_f32 v[40:41], v[50:51], v[40:41], v[36:37] op_sel:[1,0,0] op_sel_hi:[0,0,1] neg_lo:[1,0,0]
	ds_load_b128 v[36:39], v42 offset:8256
	ds_load_2addr_b64 v[48:51], v44 offset1:32
	s_wait_dscnt 0x2
	v_pk_fma_f32 v[40:41], v[56:57], v[52:53], v[40:41] op_sel_hi:[1,0,1]
	v_pk_fma_f32 v[40:41], v[56:57], v[52:53], v[40:41] op_sel:[1,1,0] op_sel_hi:[0,1,1] neg_lo:[1,0,0]
	v_mov_b32_e32 v52, v55
	s_delay_alu instid0(VALU_DEP_2) | instskip(NEXT) | instid1(VALU_DEP_1)
	v_pk_fma_f32 v[40:41], v[58:59], v[54:55], v[40:41] op_sel_hi:[1,0,1]
	v_pk_fma_f32 v[40:41], v[58:59], v[52:53], v[40:41] op_sel:[1,0,0] op_sel_hi:[0,0,1] neg_lo:[1,0,0]
	ds_load_b128 v[52:55], v42 offset:8272
	ds_load_2addr_b64 v[56:59], v44 offset0:64 offset1:96
	s_wait_dscnt 0x2
	v_pk_fma_f32 v[40:41], v[48:49], v[36:37], v[40:41] op_sel_hi:[1,0,1]
	s_delay_alu instid0(VALU_DEP_1) | instskip(SKIP_1) | instid1(VALU_DEP_2)
	v_pk_fma_f32 v[36:37], v[48:49], v[36:37], v[40:41] op_sel:[1,1,0] op_sel_hi:[0,1,1] neg_lo:[1,0,0]
	v_mov_b32_e32 v40, v39
	v_pk_fma_f32 v[36:37], v[50:51], v[38:39], v[36:37] op_sel_hi:[1,0,1]
	s_delay_alu instid0(VALU_DEP_1) | instskip(SKIP_4) | instid1(VALU_DEP_1)
	v_pk_fma_f32 v[40:41], v[50:51], v[40:41], v[36:37] op_sel:[1,0,0] op_sel_hi:[0,0,1] neg_lo:[1,0,0]
	ds_load_b128 v[36:39], v42 offset:8288
	ds_load_2addr_b64 v[48:51], v44 offset0:128 offset1:160
	s_wait_dscnt 0x2
	v_pk_fma_f32 v[40:41], v[56:57], v[52:53], v[40:41] op_sel_hi:[1,0,1]
	v_pk_fma_f32 v[40:41], v[56:57], v[52:53], v[40:41] op_sel:[1,1,0] op_sel_hi:[0,1,1] neg_lo:[1,0,0]
	v_mov_b32_e32 v52, v55
	s_delay_alu instid0(VALU_DEP_2) | instskip(NEXT) | instid1(VALU_DEP_1)
	v_pk_fma_f32 v[40:41], v[58:59], v[54:55], v[40:41] op_sel_hi:[1,0,1]
	v_pk_fma_f32 v[40:41], v[58:59], v[52:53], v[40:41] op_sel:[1,0,0] op_sel_hi:[0,0,1] neg_lo:[1,0,0]
	ds_load_b128 v[52:55], v42 offset:8304
	ds_load_2addr_b64 v[56:59], v44 offset0:192 offset1:224
	s_wait_dscnt 0x2
	v_pk_fma_f32 v[40:41], v[48:49], v[36:37], v[40:41] op_sel_hi:[1,0,1]
	s_delay_alu instid0(VALU_DEP_1) | instskip(SKIP_1) | instid1(VALU_DEP_2)
	v_pk_fma_f32 v[36:37], v[48:49], v[36:37], v[40:41] op_sel:[1,1,0] op_sel_hi:[0,1,1] neg_lo:[1,0,0]
	v_mov_b32_e32 v40, v39
	v_pk_fma_f32 v[36:37], v[50:51], v[38:39], v[36:37] op_sel_hi:[1,0,1]
	s_delay_alu instid0(VALU_DEP_1) | instskip(SKIP_4) | instid1(VALU_DEP_1)
	v_pk_fma_f32 v[40:41], v[50:51], v[40:41], v[36:37] op_sel:[1,0,0] op_sel_hi:[0,0,1] neg_lo:[1,0,0]
	ds_load_b128 v[36:39], v42 offset:8320
	ds_load_2addr_b64 v[48:51], v45 offset1:32
	s_wait_dscnt 0x2
	v_pk_fma_f32 v[40:41], v[56:57], v[52:53], v[40:41] op_sel_hi:[1,0,1]
	v_pk_fma_f32 v[40:41], v[56:57], v[52:53], v[40:41] op_sel:[1,1,0] op_sel_hi:[0,1,1] neg_lo:[1,0,0]
	v_mov_b32_e32 v52, v55
	s_delay_alu instid0(VALU_DEP_2) | instskip(NEXT) | instid1(VALU_DEP_1)
	v_pk_fma_f32 v[40:41], v[58:59], v[54:55], v[40:41] op_sel_hi:[1,0,1]
	v_pk_fma_f32 v[40:41], v[58:59], v[52:53], v[40:41] op_sel:[1,0,0] op_sel_hi:[0,0,1] neg_lo:[1,0,0]
	ds_load_b128 v[52:55], v42 offset:8336
	ds_load_2addr_b64 v[56:59], v45 offset0:64 offset1:96
	;; [unrolled: 38-line block ×3, first 2 shown]
	s_wait_dscnt 0x2
	v_pk_fma_f32 v[40:41], v[48:49], v[36:37], v[40:41] op_sel_hi:[1,0,1]
	s_delay_alu instid0(VALU_DEP_1) | instskip(SKIP_1) | instid1(VALU_DEP_2)
	v_pk_fma_f32 v[36:37], v[48:49], v[36:37], v[40:41] op_sel:[1,1,0] op_sel_hi:[0,1,1] neg_lo:[1,0,0]
	v_mov_b32_e32 v40, v39
	v_pk_fma_f32 v[36:37], v[50:51], v[38:39], v[36:37] op_sel_hi:[1,0,1]
	s_delay_alu instid0(VALU_DEP_1) | instskip(SKIP_4) | instid1(VALU_DEP_1)
	v_pk_fma_f32 v[40:41], v[50:51], v[40:41], v[36:37] op_sel:[1,0,0] op_sel_hi:[0,0,1] neg_lo:[1,0,0]
	ds_load_b128 v[36:39], v42 offset:8416
	ds_load_2addr_b64 v[48:51], v46 offset0:128 offset1:160
	s_wait_dscnt 0x2
	v_pk_fma_f32 v[40:41], v[56:57], v[52:53], v[40:41] op_sel_hi:[1,0,1]
	v_pk_fma_f32 v[40:41], v[56:57], v[52:53], v[40:41] op_sel:[1,1,0] op_sel_hi:[0,1,1] neg_lo:[1,0,0]
	v_mov_b32_e32 v52, v55
	s_delay_alu instid0(VALU_DEP_2) | instskip(NEXT) | instid1(VALU_DEP_1)
	v_pk_fma_f32 v[40:41], v[58:59], v[54:55], v[40:41] op_sel_hi:[1,0,1]
	v_pk_fma_f32 v[40:41], v[58:59], v[52:53], v[40:41] op_sel:[1,0,0] op_sel_hi:[0,0,1] neg_lo:[1,0,0]
	ds_load_b128 v[52:55], v42 offset:8432
	ds_load_2addr_b64 v[56:59], v46 offset0:192 offset1:224
	s_wait_dscnt 0x0
	s_barrier_signal -1
	s_barrier_wait -1
	v_pk_fma_f32 v[40:41], v[48:49], v[36:37], v[40:41] op_sel_hi:[1,0,1]
	s_delay_alu instid0(VALU_DEP_1) | instskip(SKIP_1) | instid1(VALU_DEP_2)
	v_pk_fma_f32 v[36:37], v[48:49], v[36:37], v[40:41] op_sel:[1,1,0] op_sel_hi:[0,1,1] neg_lo:[1,0,0]
	v_mov_b32_e32 v40, v39
	v_pk_fma_f32 v[36:37], v[50:51], v[38:39], v[36:37] op_sel_hi:[1,0,1]
	v_mov_b32_e32 v38, v55
	s_delay_alu instid0(VALU_DEP_2) | instskip(NEXT) | instid1(VALU_DEP_1)
	v_pk_fma_f32 v[36:37], v[50:51], v[40:41], v[36:37] op_sel:[1,0,0] op_sel_hi:[0,0,1] neg_lo:[1,0,0]
	v_pk_fma_f32 v[36:37], v[56:57], v[52:53], v[36:37] op_sel_hi:[1,0,1]
	s_delay_alu instid0(VALU_DEP_1) | instskip(NEXT) | instid1(VALU_DEP_1)
	v_pk_fma_f32 v[36:37], v[56:57], v[52:53], v[36:37] op_sel:[1,1,0] op_sel_hi:[0,1,1] neg_lo:[1,0,0]
	v_pk_fma_f32 v[36:37], v[58:59], v[54:55], v[36:37] op_sel_hi:[1,0,1]
	s_delay_alu instid0(VALU_DEP_1)
	v_pk_fma_f32 v[36:37], v[58:59], v[38:39], v[36:37] op_sel:[1,0,0] op_sel_hi:[0,0,1] neg_lo:[1,0,0]
	s_cbranch_vccnz .LBB8_10
.LBB8_13:                               ;   Parent Loop BB8_8 Depth=1
                                        ;     Parent Loop BB8_11 Depth=2
                                        ; =>    This Inner Loop Header: Depth=3
	s_and_b32 vcc_lo, exec_lo, s1
	s_cbranch_vccz .LBB8_19
; %bb.14:                               ;   in Loop: Header=BB8_13 Depth=3
	s_mov_b32 s44, 0
	s_mov_b32 s43, 0
                                        ; implicit-def: $vgpr38_vgpr39
	s_and_saveexec_b32 s45, s2
	s_cbranch_execz .LBB8_18
; %bb.15:                               ;   in Loop: Header=BB8_13 Depth=3
	v_add_nc_u64_e32 v[40:41], s[38:39], v[0:1]
	s_mov_b32 s46, exec_lo
                                        ; implicit-def: $vgpr38_vgpr39
	s_delay_alu instid0(VALU_DEP_1)
	v_cmpx_gt_i64_e64 s[22:23], v[40:41]
	s_xor_b32 s46, exec_lo, s46
	s_cbranch_execz .LBB8_17
; %bb.16:                               ;   in Loop: Header=BB8_13 Depth=3
	v_add_nc_u64_e32 v[38:39], s[36:37], v[40:41]
	s_mov_b32 s43, exec_lo
	s_delay_alu instid0(VALU_DEP_1) | instskip(NEXT) | instid1(VALU_DEP_1)
	v_mul_u64_e32 v[38:39], s[10:11], v[38:39]
	v_lshl_add_u64 v[38:39], v[38:39], 3, v[16:17]
.LBB8_17:                               ;   in Loop: Header=BB8_13 Depth=3
	s_or_b32 exec_lo, exec_lo, s46
	s_delay_alu instid0(SALU_CYCLE_1)
	s_and_b32 s43, s43, exec_lo
.LBB8_18:                               ;   in Loop: Header=BB8_13 Depth=3
	s_or_b32 exec_lo, exec_lo, s45
	s_delay_alu instid0(SALU_CYCLE_1)
	s_and_b32 vcc_lo, exec_lo, s44
	s_cbranch_vccnz .LBB8_20
	s_branch .LBB8_23
.LBB8_19:                               ;   in Loop: Header=BB8_13 Depth=3
	s_mov_b32 s43, 0
                                        ; implicit-def: $vgpr38_vgpr39
	s_cbranch_execz .LBB8_23
.LBB8_20:                               ;   in Loop: Header=BB8_13 Depth=3
	s_and_saveexec_b32 s44, s2
; %bb.21:                               ;   in Loop: Header=BB8_13 Depth=3
	v_add_nc_u64_e32 v[38:39], s[38:39], v[0:1]
	s_and_not1_b32 s43, s43, exec_lo
	s_delay_alu instid0(VALU_DEP_1) | instskip(SKIP_1) | instid1(SALU_CYCLE_1)
	v_cmp_gt_i64_e32 vcc_lo, s[22:23], v[38:39]
	s_and_b32 s45, vcc_lo, exec_lo
	s_or_b32 s43, s43, s45
; %bb.22:                               ;   in Loop: Header=BB8_13 Depth=3
	s_or_b32 exec_lo, exec_lo, s44
	v_mov_b64_e32 v[38:39], v[30:31]
.LBB8_23:                               ;   in Loop: Header=BB8_13 Depth=3
	v_dual_mov_b32 v40, 0 :: v_dual_mov_b32 v41, 0
	s_and_saveexec_b32 s44, s43
	s_cbranch_execnz .LBB8_31
; %bb.24:                               ;   in Loop: Header=BB8_13 Depth=3
	s_or_b32 exec_lo, exec_lo, s44
	s_delay_alu instid0(SALU_CYCLE_1)
	s_and_b32 vcc_lo, exec_lo, s33
	ds_store_b64 v9, v[40:41]
	s_cbranch_vccz .LBB8_32
.LBB8_25:                               ;   in Loop: Header=BB8_13 Depth=3
	s_mov_b32 s44, 0
	s_mov_b32 s43, 0
                                        ; implicit-def: $vgpr38_vgpr39
	s_and_saveexec_b32 s45, s0
	s_cbranch_execz .LBB8_29
; %bb.26:                               ;   in Loop: Header=BB8_13 Depth=3
	v_add_nc_u64_e32 v[40:41], s[38:39], v[6:7]
	s_mov_b32 s46, exec_lo
                                        ; implicit-def: $vgpr38_vgpr39
	s_delay_alu instid0(VALU_DEP_1)
	v_cmpx_gt_i64_e64 s[22:23], v[40:41]
	s_xor_b32 s46, exec_lo, s46
	s_cbranch_execz .LBB8_28
; %bb.27:                               ;   in Loop: Header=BB8_13 Depth=3
	v_mul_u64_e32 v[38:39], s[22:23], v[40:41]
	s_mov_b32 s43, exec_lo
	s_delay_alu instid0(VALU_DEP_1)
	v_lshl_add_u64 v[38:39], v[38:39], 3, v[32:33]
.LBB8_28:                               ;   in Loop: Header=BB8_13 Depth=3
	s_or_b32 exec_lo, exec_lo, s46
	s_delay_alu instid0(SALU_CYCLE_1)
	s_and_b32 s43, s43, exec_lo
.LBB8_29:                               ;   in Loop: Header=BB8_13 Depth=3
	s_or_b32 exec_lo, exec_lo, s45
	s_delay_alu instid0(SALU_CYCLE_1)
	s_and_b32 vcc_lo, exec_lo, s44
	s_cbranch_vccnz .LBB8_33
.LBB8_30:                               ;   in Loop: Header=BB8_13 Depth=3
	v_dual_mov_b32 v40, 0 :: v_dual_mov_b32 v41, 0
	s_and_saveexec_b32 s44, s43
	s_cbranch_execz .LBB8_12
	s_branch .LBB8_36
.LBB8_31:                               ;   in Loop: Header=BB8_13 Depth=3
	global_load_b64 v[40:41], v[38:39], off
	s_wait_xcnt 0x0
	s_or_b32 exec_lo, exec_lo, s44
	s_delay_alu instid0(SALU_CYCLE_1)
	s_and_b32 vcc_lo, exec_lo, s33
	s_wait_loadcnt 0x0
	ds_store_b64 v9, v[40:41]
	s_cbranch_vccnz .LBB8_25
.LBB8_32:                               ;   in Loop: Header=BB8_13 Depth=3
	s_mov_b32 s43, 0
                                        ; implicit-def: $vgpr38_vgpr39
	s_cbranch_execz .LBB8_30
.LBB8_33:                               ;   in Loop: Header=BB8_13 Depth=3
	s_and_saveexec_b32 s44, s0
; %bb.34:                               ;   in Loop: Header=BB8_13 Depth=3
	v_add_nc_u64_e32 v[38:39], s[38:39], v[6:7]
	s_and_not1_b32 s43, s43, exec_lo
	s_delay_alu instid0(VALU_DEP_1) | instskip(SKIP_1) | instid1(SALU_CYCLE_1)
	v_cmp_gt_i64_e32 vcc_lo, s[22:23], v[38:39]
	s_and_b32 s45, vcc_lo, exec_lo
	s_or_b32 s43, s43, s45
; %bb.35:                               ;   in Loop: Header=BB8_13 Depth=3
	s_or_b32 exec_lo, exec_lo, s44
	v_mov_b64_e32 v[38:39], v[34:35]
	v_dual_mov_b32 v40, 0 :: v_dual_mov_b32 v41, 0
	s_and_saveexec_b32 s44, s43
	s_cbranch_execz .LBB8_12
.LBB8_36:                               ;   in Loop: Header=BB8_13 Depth=3
	global_load_b64 v[40:41], v[38:39], off
	s_branch .LBB8_12
.LBB8_37:                               ;   in Loop: Header=BB8_8 Depth=1
	v_cmp_gt_i64_e32 vcc_lo, s[22:23], v[24:25]
	s_and_b32 s34, s3, vcc_lo
	s_delay_alu instid0(SALU_CYCLE_1)
	s_and_saveexec_b32 s0, s34
	s_cbranch_execz .LBB8_7
; %bb.38:                               ;   in Loop: Header=BB8_8 Depth=1
	v_add_nc_u64_e32 v[24:25], s[16:17], v[24:25]
	s_and_saveexec_b32 s34, s40
	s_delay_alu instid0(SALU_CYCLE_1)
	s_xor_b32 s34, exec_lo, s34
	s_cbranch_execz .LBB8_43
; %bb.39:                               ;   in Loop: Header=BB8_8 Depth=1
	s_and_b32 vcc_lo, exec_lo, s41
	s_mov_b32 s35, -1
	s_cbranch_vccz .LBB8_41
; %bb.40:                               ;   in Loop: Header=BB8_8 Depth=1
	v_mul_u64_e32 v[26:27], s[6:7], v[24:25]
	v_pk_mul_f32 v[30:31], v[36:37], v[10:11] op_sel:[1,0]
	s_mov_b32 s35, 0
	s_delay_alu instid0(VALU_DEP_1) | instskip(NEXT) | instid1(VALU_DEP_3)
	v_pk_fma_f32 v[30:31], v[2:3], v[36:37], v[30:31] op_sel_hi:[1,0,1]
	v_lshl_add_u64 v[26:27], v[26:27], 3, v[14:15]
	global_load_b64 v[28:29], v[26:27], off
	s_wait_loadcnt 0x0
	v_pk_fma_f32 v[30:31], v[4:5], v[28:29], v[30:31] op_sel_hi:[1,0,1]
	s_delay_alu instid0(VALU_DEP_1)
	v_pk_fma_f32 v[28:29], v[12:13], v[28:29], v[30:31] op_sel:[0,1,0]
	global_store_b64 v[26:27], v[28:29], off
.LBB8_41:                               ;   in Loop: Header=BB8_8 Depth=1
	s_and_not1_b32 vcc_lo, exec_lo, s35
	s_cbranch_vccnz .LBB8_43
; %bb.42:                               ;   in Loop: Header=BB8_8 Depth=1
	v_lshl_add_u64 v[24:25], v[24:25], 3, v[18:19]
	s_wait_xcnt 0x0
	v_pk_mul_f32 v[28:29], v[36:37], v[10:11] op_sel:[1,0]
	global_load_b64 v[26:27], v[24:25], off
	v_pk_fma_f32 v[28:29], v[2:3], v[36:37], v[28:29] op_sel_hi:[1,0,1]
                                        ; implicit-def: $vgpr36_vgpr37
	s_wait_loadcnt 0x0
	s_delay_alu instid0(VALU_DEP_1) | instskip(NEXT) | instid1(VALU_DEP_1)
	v_pk_fma_f32 v[28:29], v[4:5], v[26:27], v[28:29] op_sel_hi:[1,0,1]
	v_pk_fma_f32 v[26:27], v[12:13], v[26:27], v[28:29] op_sel:[0,1,0]
	global_store_b64 v[24:25], v[26:27], off
                                        ; implicit-def: $vgpr24_vgpr25
.LBB8_43:                               ;   in Loop: Header=BB8_8 Depth=1
	s_wait_xcnt 0x0
	s_and_not1_saveexec_b32 s34, s34
	s_cbranch_execz .LBB8_7
; %bb.44:                               ;   in Loop: Header=BB8_8 Depth=1
	v_pk_mul_f32 v[26:27], v[36:37], v[10:11] op_sel:[1,0]
	s_and_b32 vcc_lo, exec_lo, s41
	s_mov_b32 s34, -1
	s_delay_alu instid0(VALU_DEP_1)
	v_pk_fma_f32 v[26:27], v[2:3], v[36:37], v[26:27] op_sel_hi:[1,0,1]
	s_cbranch_vccz .LBB8_46
; %bb.45:                               ;   in Loop: Header=BB8_8 Depth=1
	v_mul_u64_e32 v[28:29], s[6:7], v[24:25]
	s_mov_b32 s34, 0
	s_delay_alu instid0(VALU_DEP_1)
	v_lshl_add_u64 v[28:29], v[28:29], 3, v[14:15]
	global_store_b64 v[28:29], v[26:27], off
.LBB8_46:                               ;   in Loop: Header=BB8_8 Depth=1
	s_and_not1_b32 vcc_lo, exec_lo, s34
	s_cbranch_vccnz .LBB8_7
; %bb.47:                               ;   in Loop: Header=BB8_8 Depth=1
	v_lshl_add_u64 v[24:25], v[24:25], 3, v[18:19]
	global_store_b64 v[24:25], v[26:27], off
	s_branch .LBB8_7
.LBB8_48:
	s_endpgm
	.section	.rodata,"a",@progbits
	.p2align	6, 0x0
	.amdhsa_kernel _ZN9rocsparseL29bsrmm_general_blockdim_kernelILj32ELj32Ell21rocsparse_complex_numIfES2_S2_S2_EEvb20rocsparse_direction_T2_S4_llNS_24const_host_device_scalarIT6_EEPKT1_PKS4_PKT3_S4_PKT4_llS7_PT5_ll16rocsparse_order_21rocsparse_index_base_b
		.amdhsa_group_segment_fixed_size 16384
		.amdhsa_private_segment_fixed_size 0
		.amdhsa_kernarg_size 148
		.amdhsa_user_sgpr_count 2
		.amdhsa_user_sgpr_dispatch_ptr 0
		.amdhsa_user_sgpr_queue_ptr 0
		.amdhsa_user_sgpr_kernarg_segment_ptr 1
		.amdhsa_user_sgpr_dispatch_id 0
		.amdhsa_user_sgpr_kernarg_preload_length 0
		.amdhsa_user_sgpr_kernarg_preload_offset 0
		.amdhsa_user_sgpr_private_segment_size 0
		.amdhsa_wavefront_size32 1
		.amdhsa_uses_dynamic_stack 0
		.amdhsa_enable_private_segment 0
		.amdhsa_system_sgpr_workgroup_id_x 1
		.amdhsa_system_sgpr_workgroup_id_y 1
		.amdhsa_system_sgpr_workgroup_id_z 0
		.amdhsa_system_sgpr_workgroup_info 0
		.amdhsa_system_vgpr_workitem_id 1
		.amdhsa_next_free_vgpr 60
		.amdhsa_next_free_sgpr 47
		.amdhsa_named_barrier_count 0
		.amdhsa_reserve_vcc 1
		.amdhsa_float_round_mode_32 0
		.amdhsa_float_round_mode_16_64 0
		.amdhsa_float_denorm_mode_32 3
		.amdhsa_float_denorm_mode_16_64 3
		.amdhsa_fp16_overflow 0
		.amdhsa_memory_ordered 1
		.amdhsa_forward_progress 1
		.amdhsa_inst_pref_size 23
		.amdhsa_round_robin_scheduling 0
		.amdhsa_exception_fp_ieee_invalid_op 0
		.amdhsa_exception_fp_denorm_src 0
		.amdhsa_exception_fp_ieee_div_zero 0
		.amdhsa_exception_fp_ieee_overflow 0
		.amdhsa_exception_fp_ieee_underflow 0
		.amdhsa_exception_fp_ieee_inexact 0
		.amdhsa_exception_int_div_zero 0
	.end_amdhsa_kernel
	.section	.text._ZN9rocsparseL29bsrmm_general_blockdim_kernelILj32ELj32Ell21rocsparse_complex_numIfES2_S2_S2_EEvb20rocsparse_direction_T2_S4_llNS_24const_host_device_scalarIT6_EEPKT1_PKS4_PKT3_S4_PKT4_llS7_PT5_ll16rocsparse_order_21rocsparse_index_base_b,"axG",@progbits,_ZN9rocsparseL29bsrmm_general_blockdim_kernelILj32ELj32Ell21rocsparse_complex_numIfES2_S2_S2_EEvb20rocsparse_direction_T2_S4_llNS_24const_host_device_scalarIT6_EEPKT1_PKS4_PKT3_S4_PKT4_llS7_PT5_ll16rocsparse_order_21rocsparse_index_base_b,comdat
.Lfunc_end8:
	.size	_ZN9rocsparseL29bsrmm_general_blockdim_kernelILj32ELj32Ell21rocsparse_complex_numIfES2_S2_S2_EEvb20rocsparse_direction_T2_S4_llNS_24const_host_device_scalarIT6_EEPKT1_PKS4_PKT3_S4_PKT4_llS7_PT5_ll16rocsparse_order_21rocsparse_index_base_b, .Lfunc_end8-_ZN9rocsparseL29bsrmm_general_blockdim_kernelILj32ELj32Ell21rocsparse_complex_numIfES2_S2_S2_EEvb20rocsparse_direction_T2_S4_llNS_24const_host_device_scalarIT6_EEPKT1_PKS4_PKT3_S4_PKT4_llS7_PT5_ll16rocsparse_order_21rocsparse_index_base_b
                                        ; -- End function
	.set _ZN9rocsparseL29bsrmm_general_blockdim_kernelILj32ELj32Ell21rocsparse_complex_numIfES2_S2_S2_EEvb20rocsparse_direction_T2_S4_llNS_24const_host_device_scalarIT6_EEPKT1_PKS4_PKT3_S4_PKT4_llS7_PT5_ll16rocsparse_order_21rocsparse_index_base_b.num_vgpr, 60
	.set _ZN9rocsparseL29bsrmm_general_blockdim_kernelILj32ELj32Ell21rocsparse_complex_numIfES2_S2_S2_EEvb20rocsparse_direction_T2_S4_llNS_24const_host_device_scalarIT6_EEPKT1_PKS4_PKT3_S4_PKT4_llS7_PT5_ll16rocsparse_order_21rocsparse_index_base_b.num_agpr, 0
	.set _ZN9rocsparseL29bsrmm_general_blockdim_kernelILj32ELj32Ell21rocsparse_complex_numIfES2_S2_S2_EEvb20rocsparse_direction_T2_S4_llNS_24const_host_device_scalarIT6_EEPKT1_PKS4_PKT3_S4_PKT4_llS7_PT5_ll16rocsparse_order_21rocsparse_index_base_b.numbered_sgpr, 47
	.set _ZN9rocsparseL29bsrmm_general_blockdim_kernelILj32ELj32Ell21rocsparse_complex_numIfES2_S2_S2_EEvb20rocsparse_direction_T2_S4_llNS_24const_host_device_scalarIT6_EEPKT1_PKS4_PKT3_S4_PKT4_llS7_PT5_ll16rocsparse_order_21rocsparse_index_base_b.num_named_barrier, 0
	.set _ZN9rocsparseL29bsrmm_general_blockdim_kernelILj32ELj32Ell21rocsparse_complex_numIfES2_S2_S2_EEvb20rocsparse_direction_T2_S4_llNS_24const_host_device_scalarIT6_EEPKT1_PKS4_PKT3_S4_PKT4_llS7_PT5_ll16rocsparse_order_21rocsparse_index_base_b.private_seg_size, 0
	.set _ZN9rocsparseL29bsrmm_general_blockdim_kernelILj32ELj32Ell21rocsparse_complex_numIfES2_S2_S2_EEvb20rocsparse_direction_T2_S4_llNS_24const_host_device_scalarIT6_EEPKT1_PKS4_PKT3_S4_PKT4_llS7_PT5_ll16rocsparse_order_21rocsparse_index_base_b.uses_vcc, 1
	.set _ZN9rocsparseL29bsrmm_general_blockdim_kernelILj32ELj32Ell21rocsparse_complex_numIfES2_S2_S2_EEvb20rocsparse_direction_T2_S4_llNS_24const_host_device_scalarIT6_EEPKT1_PKS4_PKT3_S4_PKT4_llS7_PT5_ll16rocsparse_order_21rocsparse_index_base_b.uses_flat_scratch, 1
	.set _ZN9rocsparseL29bsrmm_general_blockdim_kernelILj32ELj32Ell21rocsparse_complex_numIfES2_S2_S2_EEvb20rocsparse_direction_T2_S4_llNS_24const_host_device_scalarIT6_EEPKT1_PKS4_PKT3_S4_PKT4_llS7_PT5_ll16rocsparse_order_21rocsparse_index_base_b.has_dyn_sized_stack, 0
	.set _ZN9rocsparseL29bsrmm_general_blockdim_kernelILj32ELj32Ell21rocsparse_complex_numIfES2_S2_S2_EEvb20rocsparse_direction_T2_S4_llNS_24const_host_device_scalarIT6_EEPKT1_PKS4_PKT3_S4_PKT4_llS7_PT5_ll16rocsparse_order_21rocsparse_index_base_b.has_recursion, 0
	.set _ZN9rocsparseL29bsrmm_general_blockdim_kernelILj32ELj32Ell21rocsparse_complex_numIfES2_S2_S2_EEvb20rocsparse_direction_T2_S4_llNS_24const_host_device_scalarIT6_EEPKT1_PKS4_PKT3_S4_PKT4_llS7_PT5_ll16rocsparse_order_21rocsparse_index_base_b.has_indirect_call, 0
	.section	.AMDGPU.csdata,"",@progbits
; Kernel info:
; codeLenInByte = 2820
; TotalNumSgprs: 49
; NumVgprs: 60
; ScratchSize: 0
; MemoryBound: 0
; FloatMode: 240
; IeeeMode: 1
; LDSByteSize: 16384 bytes/workgroup (compile time only)
; SGPRBlocks: 0
; VGPRBlocks: 3
; NumSGPRsForWavesPerEU: 49
; NumVGPRsForWavesPerEU: 60
; NamedBarCnt: 0
; Occupancy: 16
; WaveLimiterHint : 1
; COMPUTE_PGM_RSRC2:SCRATCH_EN: 0
; COMPUTE_PGM_RSRC2:USER_SGPR: 2
; COMPUTE_PGM_RSRC2:TRAP_HANDLER: 0
; COMPUTE_PGM_RSRC2:TGID_X_EN: 1
; COMPUTE_PGM_RSRC2:TGID_Y_EN: 1
; COMPUTE_PGM_RSRC2:TGID_Z_EN: 0
; COMPUTE_PGM_RSRC2:TIDIG_COMP_CNT: 1
	.section	.text._ZN9rocsparseL29bsrmm_general_blockdim_kernelILj32ELj32Eii21rocsparse_complex_numIdES2_S2_S2_EEvb20rocsparse_direction_T2_S4_llNS_24const_host_device_scalarIT6_EEPKT1_PKS4_PKT3_S4_PKT4_llS7_PT5_ll16rocsparse_order_21rocsparse_index_base_b,"axG",@progbits,_ZN9rocsparseL29bsrmm_general_blockdim_kernelILj32ELj32Eii21rocsparse_complex_numIdES2_S2_S2_EEvb20rocsparse_direction_T2_S4_llNS_24const_host_device_scalarIT6_EEPKT1_PKS4_PKT3_S4_PKT4_llS7_PT5_ll16rocsparse_order_21rocsparse_index_base_b,comdat
	.globl	_ZN9rocsparseL29bsrmm_general_blockdim_kernelILj32ELj32Eii21rocsparse_complex_numIdES2_S2_S2_EEvb20rocsparse_direction_T2_S4_llNS_24const_host_device_scalarIT6_EEPKT1_PKS4_PKT3_S4_PKT4_llS7_PT5_ll16rocsparse_order_21rocsparse_index_base_b ; -- Begin function _ZN9rocsparseL29bsrmm_general_blockdim_kernelILj32ELj32Eii21rocsparse_complex_numIdES2_S2_S2_EEvb20rocsparse_direction_T2_S4_llNS_24const_host_device_scalarIT6_EEPKT1_PKS4_PKT3_S4_PKT4_llS7_PT5_ll16rocsparse_order_21rocsparse_index_base_b
	.p2align	8
	.type	_ZN9rocsparseL29bsrmm_general_blockdim_kernelILj32ELj32Eii21rocsparse_complex_numIdES2_S2_S2_EEvb20rocsparse_direction_T2_S4_llNS_24const_host_device_scalarIT6_EEPKT1_PKS4_PKT3_S4_PKT4_llS7_PT5_ll16rocsparse_order_21rocsparse_index_base_b,@function
_ZN9rocsparseL29bsrmm_general_blockdim_kernelILj32ELj32Eii21rocsparse_complex_numIdES2_S2_S2_EEvb20rocsparse_direction_T2_S4_llNS_24const_host_device_scalarIT6_EEPKT1_PKS4_PKT3_S4_PKT4_llS7_PT5_ll16rocsparse_order_21rocsparse_index_base_b: ; @_ZN9rocsparseL29bsrmm_general_blockdim_kernelILj32ELj32Eii21rocsparse_complex_numIdES2_S2_S2_EEvb20rocsparse_direction_T2_S4_llNS_24const_host_device_scalarIT6_EEPKT1_PKS4_PKT3_S4_PKT4_llS7_PT5_ll16rocsparse_order_21rocsparse_index_base_b
; %bb.0:
	s_clause 0x1
	s_load_b96 s[20:22], s[0:1], 0x90
	s_load_b64 s[2:3], s[0:1], 0x20
	v_mov_b32_e32 v1, 0
	s_add_nc_u64 s[4:5], s[0:1], 32
	s_load_b64 s[6:7], s[0:1], 0x68
	s_wait_kmcnt 0x0
	s_bitcmp1_b32 s22, 0
	s_cselect_b32 s3, s5, s3
	s_cselect_b32 s2, s4, s2
	flat_load_b128 v[2:5], v1, s[2:3]
	s_wait_xcnt 0x0
	s_add_nc_u64 s[2:3], s[0:1], 0x68
	s_delay_alu instid0(SALU_CYCLE_1)
	s_cselect_b32 s3, s3, s7
	s_cselect_b32 s2, s2, s6
	flat_load_b128 v[6:9], v1, s[2:3]
	s_wait_loadcnt_dscnt 0x101
	v_cmp_eq_f64_e32 vcc_lo, 0, v[2:3]
	s_wait_xcnt 0x0
	v_cmp_eq_f64_e64 s2, 0, v[4:5]
	s_and_b32 s4, vcc_lo, s2
	s_mov_b32 s2, -1
	s_and_saveexec_b32 s3, s4
	s_cbranch_execz .LBB9_2
; %bb.1:
	s_wait_loadcnt_dscnt 0x0
	v_cmp_neq_f64_e32 vcc_lo, 1.0, v[6:7]
	v_cmp_neq_f64_e64 s2, 0, v[8:9]
	s_or_b32 s2, vcc_lo, s2
	s_delay_alu instid0(SALU_CYCLE_1)
	s_or_not1_b32 s2, s2, exec_lo
.LBB9_2:
	s_or_b32 exec_lo, exec_lo, s3
	s_and_saveexec_b32 s3, s2
	s_cbranch_execz .LBB9_56
; %bb.3:
	s_clause 0x1
	s_load_b128 s[16:19], s[0:1], 0x0
	s_load_b64 s[2:3], s[0:1], 0x30
	s_bfe_u32 s4, ttmp6, 0x4000c
	s_and_b32 s5, ttmp6, 15
	s_add_co_i32 s4, s4, 1
	s_getreg_b32 s12, hwreg(HW_REG_IB_STS2, 6, 4)
	s_mul_i32 s4, ttmp9, s4
	s_mov_b32 s24, 0
	s_add_co_i32 s5, s5, s4
	s_cmp_eq_u32 s12, 0
	s_cselect_b32 s22, ttmp9, s5
	s_wait_kmcnt 0x0
	s_cmp_lt_i32 s22, s18
	s_cselect_b32 s27, -1, 0
	s_cmp_ge_i32 s22, s18
	s_mov_b32 s18, 0
	s_cbranch_scc0 .LBB9_6
; %bb.4:
	s_and_not1_b32 vcc_lo, exec_lo, s27
	s_cbranch_vccz .LBB9_7
.LBB9_5:
	s_load_b32 s23, s[0:1], 0x48
	s_wait_kmcnt 0x0
	s_cmp_lt_i32 s23, 1
	s_cbranch_scc0 .LBB9_8
	s_branch .LBB9_56
.LBB9_6:
	s_ashr_i32 s23, s22, 31
	s_delay_alu instid0(SALU_CYCLE_1) | instskip(NEXT) | instid1(SALU_CYCLE_1)
	s_lshl_b64 s[4:5], s[22:23], 2
	s_add_nc_u64 s[4:5], s[2:3], s[4:5]
	s_load_b32 s4, s[4:5], 0x0
	s_wait_kmcnt 0x0
	s_sub_co_i32 s18, s4, s21
	s_and_not1_b32 vcc_lo, exec_lo, s27
	s_cbranch_vccnz .LBB9_5
.LBB9_7:
	s_ashr_i32 s23, s22, 31
	s_delay_alu instid0(SALU_CYCLE_1) | instskip(NEXT) | instid1(SALU_CYCLE_1)
	s_lshl_b64 s[4:5], s[22:23], 2
	s_add_nc_u64 s[2:3], s[2:3], s[4:5]
	s_load_b32 s2, s[2:3], 0x4
	s_wait_kmcnt 0x0
	s_sub_co_i32 s24, s2, s21
	s_load_b32 s23, s[0:1], 0x48
	s_wait_kmcnt 0x0
	s_cmp_lt_i32 s23, 1
	s_cbranch_scc1 .LBB9_56
.LBB9_8:
	s_bitcmp1_b32 s16, 0
	s_load_b128 s[4:7], s[0:1], 0x78
	s_cselect_b32 s2, -1, 0
	s_bfe_u32 s3, ttmp6, 0x40010
	s_load_b128 s[8:11], s[0:1], 0x50
	s_add_co_i32 s3, s3, 1
	s_bfe_u32 s13, ttmp6, 0x40004
	s_mul_i32 s3, ttmp7, s3
	v_bfe_u32 v26, v0, 10, 10
	s_xor_b32 s16, s2, -1
	s_add_co_i32 s13, s13, s3
	s_cmp_eq_u32 s12, 0
	v_and_b32_e32 v27, 0x3ff, v0
	s_cselect_b32 s2, ttmp7, s13
	s_wait_loadcnt_dscnt 0x0
	v_cmp_neq_f64_e32 vcc_lo, 0, v[6:7]
	v_lshl_add_u32 v10, s2, 5, v26
	v_cmp_neq_f64_e64 s2, 0, v[8:9]
	s_load_b128 s[12:15], s[0:1], 0x38
	v_dual_lshlrev_b32 v28, 4, v27 :: v_dual_lshlrev_b32 v20, 9, v26
	v_ashrrev_i32_e32 v11, 31, v10
	s_wait_xcnt 0x0
	v_cmp_gt_i32_e64 s0, s19, v10
	s_cmp_lt_i32 s18, s24
	v_or_b32_e32 v0, 0x4000, v28
	s_cselect_b32 s26, -1, 0
	s_wait_kmcnt 0x0
	v_mul_u64_e32 v[12:13], s[10:11], v[10:11]
	v_mul_u64_e32 v[18:19], s[6:7], v[10:11]
	v_lshlrev_b64_e32 v[14:15], 4, v[10:11]
	s_cmp_lg_u32 s17, 0
	v_add_nc_u32_e32 v30, v0, v20
	v_add_nc_u32_e32 v29, 0x4000, v20
	s_cselect_b32 s17, -1, 0
	s_and_b32 s19, s27, s0
	v_add_nc_u32_e32 v31, v28, v20
	v_add_nc_u64_e32 v[0:1], s[8:9], v[14:15]
	v_add_nc_u64_e32 v[14:15], s[4:5], v[14:15]
	s_mov_b32 s25, 0
	s_or_b32 s27, vcc_lo, s2
	s_cmp_lg_u32 s20, 1
	v_lshl_add_u64 v[16:17], v[12:13], 4, s[8:9]
	v_lshl_add_u64 v[18:19], v[18:19], 4, s[4:5]
	s_mul_i32 s4, s23, s22
	s_cselect_b32 s5, -1, 0
	s_branch .LBB9_10
.LBB9_9:                                ;   in Loop: Header=BB9_10 Depth=1
	s_wait_xcnt 0x0
	s_or_b32 exec_lo, exec_lo, s1
	s_add_co_i32 s25, s25, 32
	s_delay_alu instid0(SALU_CYCLE_1)
	s_cmp_lt_i32 s25, s23
	s_cbranch_scc0 .LBB9_56
.LBB9_10:                               ; =>This Loop Header: Depth=1
                                        ;     Child Loop BB9_13 Depth 2
                                        ;       Child Loop BB9_14 Depth 3
                                        ;         Child Loop BB9_26 Depth 4
	v_add_nc_u32_e32 v32, s25, v27
	v_mov_b64_e32 v[20:21], 0
	v_mov_b64_e32 v[22:23], 0
	s_and_not1_b32 vcc_lo, exec_lo, s26
	s_delay_alu instid0(VALU_DEP_3)
	v_cmp_gt_i32_e64 s1, s23, v32
	s_cbranch_vccnz .LBB9_45
; %bb.11:                               ;   in Loop: Header=BB9_10 Depth=1
	v_mov_b64_e32 v[20:21], 0
	v_mov_b64_e32 v[22:23], 0
	s_mov_b32 s2, s18
	s_branch .LBB9_13
.LBB9_12:                               ;   in Loop: Header=BB9_13 Depth=2
	s_add_co_i32 s2, s2, 1
	s_delay_alu instid0(SALU_CYCLE_1)
	s_cmp_ge_i32 s2, s24
	s_cbranch_scc1 .LBB9_45
.LBB9_13:                               ;   Parent Loop BB9_10 Depth=1
                                        ; =>  This Loop Header: Depth=2
                                        ;       Child Loop BB9_14 Depth 3
                                        ;         Child Loop BB9_26 Depth 4
	s_ashr_i32 s3, s2, 31
	s_delay_alu instid0(SALU_CYCLE_1)
	s_lshl_b64 s[8:9], s[2:3], 2
	s_mul_i32 s3, s2, s23
	s_add_nc_u64 s[8:9], s[12:13], s[8:9]
	v_add_nc_u32_e32 v10, s3, v32
	s_load_b32 s8, s[8:9], 0x0
	s_wait_xcnt 0x0
	s_mov_b32 s9, 0
	s_delay_alu instid0(VALU_DEP_1) | instskip(SKIP_2) | instid1(SALU_CYCLE_1)
	v_mul_lo_u32 v33, v10, s23
	s_wait_kmcnt 0x0
	s_sub_co_i32 s8, s8, s21
	s_mul_i32 s8, s8, s23
.LBB9_14:                               ;   Parent Loop BB9_10 Depth=1
                                        ;     Parent Loop BB9_13 Depth=2
                                        ; =>    This Loop Header: Depth=3
                                        ;         Child Loop BB9_26 Depth 4
	s_mov_b32 s22, -1
	s_and_b32 vcc_lo, exec_lo, s16
	s_mov_b32 s20, 0
                                        ; implicit-def: $vgpr24_vgpr25
	s_cbranch_vccnz .LBB9_28
; %bb.15:                               ;   in Loop: Header=BB9_14 Depth=3
	s_and_b32 vcc_lo, exec_lo, s22
	s_cbranch_vccnz .LBB9_33
.LBB9_16:                               ;   in Loop: Header=BB9_14 Depth=3
	v_mov_b64_e32 v[10:11], 0
	v_mov_b64_e32 v[12:13], 0
	s_and_saveexec_b32 s22, s20
	s_cbranch_execnz .LBB9_38
.LBB9_17:                               ;   in Loop: Header=BB9_14 Depth=3
	s_or_b32 exec_lo, exec_lo, s22
	s_delay_alu instid0(SALU_CYCLE_1)
	s_and_b32 vcc_lo, exec_lo, s17
	ds_store_b128 v30, v[10:13]
	s_cbranch_vccz .LBB9_39
.LBB9_18:                               ;   in Loop: Header=BB9_14 Depth=3
	s_mov_b32 s22, 0
	s_mov_b32 s20, 0
                                        ; implicit-def: $vgpr24
	s_and_saveexec_b32 s28, s1
	s_cbranch_execz .LBB9_22
; %bb.19:                               ;   in Loop: Header=BB9_14 Depth=3
	v_add_nc_u32_e32 v10, s9, v26
	s_mov_b32 s29, exec_lo
                                        ; implicit-def: $vgpr24
	s_delay_alu instid0(VALU_DEP_1)
	v_cmpx_gt_i32_e64 s23, v10
	s_xor_b32 s29, exec_lo, s29
; %bb.20:                               ;   in Loop: Header=BB9_14 Depth=3
	v_add_nc_u32_e32 v10, s3, v10
	s_mov_b32 s20, exec_lo
	s_delay_alu instid0(VALU_DEP_1)
	v_mad_u32 v24, v10, s23, v32
; %bb.21:                               ;   in Loop: Header=BB9_14 Depth=3
	s_or_b32 exec_lo, exec_lo, s29
	s_delay_alu instid0(SALU_CYCLE_1)
	s_and_b32 s20, s20, exec_lo
.LBB9_22:                               ;   in Loop: Header=BB9_14 Depth=3
	s_or_b32 exec_lo, exec_lo, s28
	s_delay_alu instid0(SALU_CYCLE_1)
	s_and_b32 vcc_lo, exec_lo, s22
	s_cbranch_vccnz .LBB9_40
.LBB9_23:                               ;   in Loop: Header=BB9_14 Depth=3
	v_mov_b64_e32 v[10:11], 0
	v_mov_b64_e32 v[12:13], 0
	s_and_saveexec_b32 s22, s20
	s_cbranch_execz .LBB9_25
.LBB9_24:                               ;   in Loop: Header=BB9_14 Depth=3
	global_load_b128 v[10:13], v24, s[14:15] scale_offset
.LBB9_25:                               ;   in Loop: Header=BB9_14 Depth=3
	s_wait_xcnt 0x0
	s_or_b32 exec_lo, exec_lo, s22
	s_wait_loadcnt 0x0
	ds_store_b128 v31, v[10:13]
	v_mov_b32_e32 v10, v28
	s_mov_b32 s20, 0
	s_wait_dscnt 0x0
	s_barrier_signal -1
	s_barrier_wait -1
.LBB9_26:                               ;   Parent Loop BB9_10 Depth=1
                                        ;     Parent Loop BB9_13 Depth=2
                                        ;       Parent Loop BB9_14 Depth=3
                                        ; =>      This Inner Loop Header: Depth=4
	v_add_nc_u32_e32 v11, s20, v29
	s_addk_co_i32 s20, 0x80
	ds_load_b128 v[34:37], v10
	ds_load_b128 v[38:41], v11
	ds_load_b128 v[42:45], v10 offset:512
	ds_load_b128 v[46:49], v11 offset:16
	s_cmp_eq_u32 s20, 0x200
	s_wait_dscnt 0x2
	v_fmac_f64_e32 v[22:23], v[34:35], v[38:39]
	v_fmac_f64_e32 v[20:21], v[36:37], v[38:39]
	s_delay_alu instid0(VALU_DEP_2) | instskip(NEXT) | instid1(VALU_DEP_2)
	v_fma_f64 v[12:13], -v[36:37], v[40:41], v[22:23]
	v_fmac_f64_e32 v[20:21], v[34:35], v[40:41]
	s_wait_dscnt 0x0
	s_delay_alu instid0(VALU_DEP_2) | instskip(NEXT) | instid1(VALU_DEP_2)
	v_fmac_f64_e32 v[12:13], v[42:43], v[46:47]
	v_fmac_f64_e32 v[20:21], v[44:45], v[46:47]
	s_delay_alu instid0(VALU_DEP_2) | instskip(NEXT) | instid1(VALU_DEP_2)
	v_fma_f64 v[12:13], -v[44:45], v[48:49], v[12:13]
	v_fmac_f64_e32 v[20:21], v[42:43], v[48:49]
	ds_load_b128 v[22:25], v10 offset:1024
	ds_load_b128 v[34:37], v11 offset:32
	ds_load_b128 v[38:41], v10 offset:1536
	ds_load_b128 v[42:45], v11 offset:48
	s_wait_dscnt 0x2
	v_fmac_f64_e32 v[12:13], v[22:23], v[34:35]
	v_fmac_f64_e32 v[20:21], v[24:25], v[34:35]
	s_delay_alu instid0(VALU_DEP_2) | instskip(NEXT) | instid1(VALU_DEP_2)
	v_fma_f64 v[12:13], -v[24:25], v[36:37], v[12:13]
	v_fmac_f64_e32 v[20:21], v[22:23], v[36:37]
	s_wait_dscnt 0x0
	s_delay_alu instid0(VALU_DEP_2) | instskip(NEXT) | instid1(VALU_DEP_2)
	v_fmac_f64_e32 v[12:13], v[38:39], v[42:43]
	v_fmac_f64_e32 v[20:21], v[40:41], v[42:43]
	s_delay_alu instid0(VALU_DEP_2) | instskip(NEXT) | instid1(VALU_DEP_2)
	v_fma_f64 v[12:13], -v[40:41], v[44:45], v[12:13]
	v_fmac_f64_e32 v[20:21], v[38:39], v[44:45]
	ds_load_b128 v[22:25], v10 offset:2048
	ds_load_b128 v[34:37], v11 offset:64
	ds_load_b128 v[38:41], v10 offset:2560
	ds_load_b128 v[42:45], v11 offset:80
	;; [unrolled: 17-line block ×3, first 2 shown]
	v_add_nc_u32_e32 v10, 0x1000, v10
	s_wait_dscnt 0x2
	v_fmac_f64_e32 v[12:13], v[22:23], v[34:35]
	v_fmac_f64_e32 v[20:21], v[24:25], v[34:35]
	s_delay_alu instid0(VALU_DEP_2) | instskip(NEXT) | instid1(VALU_DEP_2)
	v_fma_f64 v[12:13], -v[24:25], v[36:37], v[12:13]
	v_fmac_f64_e32 v[20:21], v[22:23], v[36:37]
	s_wait_dscnt 0x0
	s_delay_alu instid0(VALU_DEP_2) | instskip(NEXT) | instid1(VALU_DEP_2)
	v_fmac_f64_e32 v[12:13], v[38:39], v[42:43]
	v_fmac_f64_e32 v[20:21], v[40:41], v[42:43]
	s_delay_alu instid0(VALU_DEP_2) | instskip(NEXT) | instid1(VALU_DEP_2)
	v_fma_f64 v[22:23], -v[40:41], v[44:45], v[12:13]
	v_fmac_f64_e32 v[20:21], v[38:39], v[44:45]
	s_cbranch_scc0 .LBB9_26
; %bb.27:                               ;   in Loop: Header=BB9_14 Depth=3
	s_add_co_i32 s9, s9, 32
	s_delay_alu instid0(SALU_CYCLE_1)
	s_cmp_ge_i32 s9, s23
	s_barrier_signal -1
	s_barrier_wait -1
	s_cbranch_scc0 .LBB9_14
	s_branch .LBB9_12
.LBB9_28:                               ;   in Loop: Header=BB9_14 Depth=3
	s_mov_b32 s22, 0
                                        ; implicit-def: $vgpr24_vgpr25
	s_and_saveexec_b32 s28, s0
	s_cbranch_execz .LBB9_32
; %bb.29:                               ;   in Loop: Header=BB9_14 Depth=3
	v_add_nc_u32_e32 v10, s9, v27
	s_mov_b32 s29, exec_lo
                                        ; implicit-def: $vgpr24_vgpr25
	s_delay_alu instid0(VALU_DEP_1)
	v_cmpx_gt_i32_e64 s23, v10
	s_xor_b32 s29, exec_lo, s29
	s_cbranch_execz .LBB9_31
; %bb.30:                               ;   in Loop: Header=BB9_14 Depth=3
	v_add_nc_u32_e32 v10, s8, v10
	s_mov_b32 s20, exec_lo
	s_delay_alu instid0(VALU_DEP_1) | instskip(NEXT) | instid1(VALU_DEP_1)
	v_ashrrev_i32_e32 v11, 31, v10
	v_mul_u64_e32 v[10:11], s[10:11], v[10:11]
	s_delay_alu instid0(VALU_DEP_1)
	v_lshl_add_u64 v[24:25], v[10:11], 4, v[0:1]
.LBB9_31:                               ;   in Loop: Header=BB9_14 Depth=3
	s_or_b32 exec_lo, exec_lo, s29
	s_delay_alu instid0(SALU_CYCLE_1)
	s_and_b32 s20, s20, exec_lo
.LBB9_32:                               ;   in Loop: Header=BB9_14 Depth=3
	s_or_b32 exec_lo, exec_lo, s28
	s_delay_alu instid0(SALU_CYCLE_1)
	s_and_b32 vcc_lo, exec_lo, s22
	s_cbranch_vccz .LBB9_16
.LBB9_33:                               ;   in Loop: Header=BB9_14 Depth=3
                                        ; implicit-def: $vgpr24_vgpr25
	s_and_saveexec_b32 s22, s0
	s_cbranch_execz .LBB9_37
; %bb.34:                               ;   in Loop: Header=BB9_14 Depth=3
	v_add_nc_u32_e32 v10, s9, v27
	s_mov_b32 s29, s20
	s_mov_b32 s28, exec_lo
                                        ; implicit-def: $vgpr24_vgpr25
	s_delay_alu instid0(VALU_DEP_1)
	v_cmpx_gt_i32_e64 s23, v10
; %bb.35:                               ;   in Loop: Header=BB9_14 Depth=3
	v_add_nc_u32_e32 v10, s8, v10
	s_or_b32 s29, s20, exec_lo
	s_delay_alu instid0(VALU_DEP_1) | instskip(NEXT) | instid1(VALU_DEP_1)
	v_ashrrev_i32_e32 v11, 31, v10
	v_lshl_add_u64 v[24:25], v[10:11], 4, v[16:17]
; %bb.36:                               ;   in Loop: Header=BB9_14 Depth=3
	s_or_b32 exec_lo, exec_lo, s28
	s_delay_alu instid0(SALU_CYCLE_1) | instskip(SKIP_1) | instid1(SALU_CYCLE_1)
	s_and_not1_b32 s20, s20, exec_lo
	s_and_b32 s28, s29, exec_lo
	s_or_b32 s20, s20, s28
.LBB9_37:                               ;   in Loop: Header=BB9_14 Depth=3
	s_or_b32 exec_lo, exec_lo, s22
	v_mov_b64_e32 v[10:11], 0
	v_mov_b64_e32 v[12:13], 0
	s_and_saveexec_b32 s22, s20
	s_cbranch_execz .LBB9_17
.LBB9_38:                               ;   in Loop: Header=BB9_14 Depth=3
	global_load_b128 v[10:13], v[24:25], off
	s_wait_xcnt 0x0
	s_or_b32 exec_lo, exec_lo, s22
	s_delay_alu instid0(SALU_CYCLE_1)
	s_and_b32 vcc_lo, exec_lo, s17
	s_wait_loadcnt 0x0
	ds_store_b128 v30, v[10:13]
	s_cbranch_vccnz .LBB9_18
.LBB9_39:                               ;   in Loop: Header=BB9_14 Depth=3
	s_mov_b32 s20, 0
                                        ; implicit-def: $vgpr24
	s_cbranch_execz .LBB9_23
.LBB9_40:                               ;   in Loop: Header=BB9_14 Depth=3
                                        ; implicit-def: $vgpr24
	s_and_saveexec_b32 s22, s1
	s_cbranch_execz .LBB9_44
; %bb.41:                               ;   in Loop: Header=BB9_14 Depth=3
	v_add_nc_u32_e32 v10, s9, v26
	s_mov_b32 s28, s20
	s_mov_b32 s29, exec_lo
                                        ; implicit-def: $vgpr24
	s_delay_alu instid0(VALU_DEP_1)
	v_cmpx_gt_i32_e64 s23, v10
; %bb.42:                               ;   in Loop: Header=BB9_14 Depth=3
	v_add_nc_u32_e32 v24, v10, v33
	s_or_b32 s28, s20, exec_lo
; %bb.43:                               ;   in Loop: Header=BB9_14 Depth=3
	s_or_b32 exec_lo, exec_lo, s29
	s_delay_alu instid0(SALU_CYCLE_1) | instskip(SKIP_1) | instid1(SALU_CYCLE_1)
	s_and_not1_b32 s20, s20, exec_lo
	s_and_b32 s28, s28, exec_lo
	s_or_b32 s20, s20, s28
.LBB9_44:                               ;   in Loop: Header=BB9_14 Depth=3
	s_or_b32 exec_lo, exec_lo, s22
	v_mov_b64_e32 v[10:11], 0
	v_mov_b64_e32 v[12:13], 0
	s_and_saveexec_b32 s22, s20
	s_cbranch_execnz .LBB9_24
	s_branch .LBB9_25
.LBB9_45:                               ;   in Loop: Header=BB9_10 Depth=1
	v_cmp_gt_i32_e32 vcc_lo, s23, v32
	s_and_b32 s2, s19, vcc_lo
	s_delay_alu instid0(SALU_CYCLE_1)
	s_and_saveexec_b32 s1, s2
	s_cbranch_execz .LBB9_9
; %bb.46:                               ;   in Loop: Header=BB9_10 Depth=1
	v_add_nc_u32_e32 v24, s4, v32
	s_delay_alu instid0(VALU_DEP_1) | instskip(SKIP_1) | instid1(SALU_CYCLE_1)
	v_ashrrev_i32_e32 v25, 31, v24
	s_and_saveexec_b32 s2, s27
	s_xor_b32 s2, exec_lo, s2
	s_cbranch_execz .LBB9_51
; %bb.47:                               ;   in Loop: Header=BB9_10 Depth=1
	s_and_b32 vcc_lo, exec_lo, s5
	s_mov_b32 s3, -1
	s_cbranch_vccz .LBB9_49
; %bb.48:                               ;   in Loop: Header=BB9_10 Depth=1
	v_mul_u64_e32 v[10:11], s[6:7], v[24:25]
	v_mul_f64_e64 v[32:33], v[20:21], -v[4:5]
	v_mul_f64_e32 v[34:35], v[2:3], v[20:21]
	s_mov_b32 s3, 0
	s_delay_alu instid0(VALU_DEP_3) | instskip(NEXT) | instid1(VALU_DEP_3)
	v_lshl_add_u64 v[36:37], v[10:11], 4, v[14:15]
	v_fmac_f64_e32 v[32:33], v[2:3], v[22:23]
	s_delay_alu instid0(VALU_DEP_3) | instskip(SKIP_4) | instid1(VALU_DEP_2)
	v_fmac_f64_e32 v[34:35], v[4:5], v[22:23]
	global_load_b128 v[10:13], v[36:37], off
	s_wait_loadcnt 0x0
	v_fmac_f64_e32 v[32:33], v[6:7], v[10:11]
	v_fmac_f64_e32 v[34:35], v[8:9], v[10:11]
	v_fma_f64 v[32:33], -v[8:9], v[12:13], v[32:33]
	s_delay_alu instid0(VALU_DEP_2)
	v_fmac_f64_e32 v[34:35], v[6:7], v[12:13]
	global_store_b128 v[36:37], v[32:35], off
.LBB9_49:                               ;   in Loop: Header=BB9_10 Depth=1
	s_and_not1_b32 vcc_lo, exec_lo, s3
	s_cbranch_vccnz .LBB9_51
; %bb.50:                               ;   in Loop: Header=BB9_10 Depth=1
	s_wait_xcnt 0x0
	v_lshl_add_u64 v[32:33], v[24:25], 4, v[18:19]
	v_mul_f64_e64 v[34:35], v[20:21], -v[4:5]
	v_mul_f64_e32 v[24:25], v[2:3], v[20:21]
                                        ; implicit-def: $vgpr20_vgpr21
	global_load_b128 v[10:13], v[32:33], off
	v_fmac_f64_e32 v[34:35], v[2:3], v[22:23]
	v_fmac_f64_e32 v[24:25], v[4:5], v[22:23]
	s_wait_loadcnt 0x0
	s_delay_alu instid0(VALU_DEP_2) | instskip(NEXT) | instid1(VALU_DEP_2)
	v_fmac_f64_e32 v[34:35], v[6:7], v[10:11]
	v_fmac_f64_e32 v[24:25], v[8:9], v[10:11]
	s_delay_alu instid0(VALU_DEP_2) | instskip(NEXT) | instid1(VALU_DEP_2)
	v_fma_f64 v[22:23], -v[8:9], v[12:13], v[34:35]
	v_fmac_f64_e32 v[24:25], v[6:7], v[12:13]
	global_store_b128 v[32:33], v[22:25], off
                                        ; implicit-def: $vgpr22_vgpr23
                                        ; implicit-def: $vgpr24
.LBB9_51:                               ;   in Loop: Header=BB9_10 Depth=1
	s_wait_xcnt 0x0
	s_and_not1_saveexec_b32 s2, s2
	s_cbranch_execz .LBB9_9
; %bb.52:                               ;   in Loop: Header=BB9_10 Depth=1
	s_delay_alu instid0(VALU_DEP_4) | instskip(SKIP_3) | instid1(VALU_DEP_2)
	v_mul_f64_e64 v[10:11], v[20:21], -v[4:5]
	v_mul_f64_e32 v[12:13], v[2:3], v[20:21]
	s_and_b32 vcc_lo, exec_lo, s5
	s_mov_b32 s2, -1
	v_fmac_f64_e32 v[10:11], v[2:3], v[22:23]
	s_delay_alu instid0(VALU_DEP_2)
	v_fmac_f64_e32 v[12:13], v[4:5], v[22:23]
	s_cbranch_vccz .LBB9_54
; %bb.53:                               ;   in Loop: Header=BB9_10 Depth=1
	v_mul_u64_e32 v[20:21], s[6:7], v[24:25]
	s_mov_b32 s2, 0
	s_delay_alu instid0(VALU_DEP_1)
	v_lshl_add_u64 v[20:21], v[20:21], 4, v[14:15]
	global_store_b128 v[20:21], v[10:13], off
.LBB9_54:                               ;   in Loop: Header=BB9_10 Depth=1
	s_and_not1_b32 vcc_lo, exec_lo, s2
	s_cbranch_vccnz .LBB9_9
; %bb.55:                               ;   in Loop: Header=BB9_10 Depth=1
	s_wait_xcnt 0x0
	v_lshl_add_u64 v[20:21], v[24:25], 4, v[18:19]
	global_store_b128 v[20:21], v[10:13], off
	s_branch .LBB9_9
.LBB9_56:
	s_endpgm
	.section	.rodata,"a",@progbits
	.p2align	6, 0x0
	.amdhsa_kernel _ZN9rocsparseL29bsrmm_general_blockdim_kernelILj32ELj32Eii21rocsparse_complex_numIdES2_S2_S2_EEvb20rocsparse_direction_T2_S4_llNS_24const_host_device_scalarIT6_EEPKT1_PKS4_PKT3_S4_PKT4_llS7_PT5_ll16rocsparse_order_21rocsparse_index_base_b
		.amdhsa_group_segment_fixed_size 32768
		.amdhsa_private_segment_fixed_size 0
		.amdhsa_kernarg_size 156
		.amdhsa_user_sgpr_count 2
		.amdhsa_user_sgpr_dispatch_ptr 0
		.amdhsa_user_sgpr_queue_ptr 0
		.amdhsa_user_sgpr_kernarg_segment_ptr 1
		.amdhsa_user_sgpr_dispatch_id 0
		.amdhsa_user_sgpr_kernarg_preload_length 0
		.amdhsa_user_sgpr_kernarg_preload_offset 0
		.amdhsa_user_sgpr_private_segment_size 0
		.amdhsa_wavefront_size32 1
		.amdhsa_uses_dynamic_stack 0
		.amdhsa_enable_private_segment 0
		.amdhsa_system_sgpr_workgroup_id_x 1
		.amdhsa_system_sgpr_workgroup_id_y 1
		.amdhsa_system_sgpr_workgroup_id_z 0
		.amdhsa_system_sgpr_workgroup_info 0
		.amdhsa_system_vgpr_workitem_id 1
		.amdhsa_next_free_vgpr 50
		.amdhsa_next_free_sgpr 30
		.amdhsa_named_barrier_count 0
		.amdhsa_reserve_vcc 1
		.amdhsa_float_round_mode_32 0
		.amdhsa_float_round_mode_16_64 0
		.amdhsa_float_denorm_mode_32 3
		.amdhsa_float_denorm_mode_16_64 3
		.amdhsa_fp16_overflow 0
		.amdhsa_memory_ordered 1
		.amdhsa_forward_progress 1
		.amdhsa_inst_pref_size 17
		.amdhsa_round_robin_scheduling 0
		.amdhsa_exception_fp_ieee_invalid_op 0
		.amdhsa_exception_fp_denorm_src 0
		.amdhsa_exception_fp_ieee_div_zero 0
		.amdhsa_exception_fp_ieee_overflow 0
		.amdhsa_exception_fp_ieee_underflow 0
		.amdhsa_exception_fp_ieee_inexact 0
		.amdhsa_exception_int_div_zero 0
	.end_amdhsa_kernel
	.section	.text._ZN9rocsparseL29bsrmm_general_blockdim_kernelILj32ELj32Eii21rocsparse_complex_numIdES2_S2_S2_EEvb20rocsparse_direction_T2_S4_llNS_24const_host_device_scalarIT6_EEPKT1_PKS4_PKT3_S4_PKT4_llS7_PT5_ll16rocsparse_order_21rocsparse_index_base_b,"axG",@progbits,_ZN9rocsparseL29bsrmm_general_blockdim_kernelILj32ELj32Eii21rocsparse_complex_numIdES2_S2_S2_EEvb20rocsparse_direction_T2_S4_llNS_24const_host_device_scalarIT6_EEPKT1_PKS4_PKT3_S4_PKT4_llS7_PT5_ll16rocsparse_order_21rocsparse_index_base_b,comdat
.Lfunc_end9:
	.size	_ZN9rocsparseL29bsrmm_general_blockdim_kernelILj32ELj32Eii21rocsparse_complex_numIdES2_S2_S2_EEvb20rocsparse_direction_T2_S4_llNS_24const_host_device_scalarIT6_EEPKT1_PKS4_PKT3_S4_PKT4_llS7_PT5_ll16rocsparse_order_21rocsparse_index_base_b, .Lfunc_end9-_ZN9rocsparseL29bsrmm_general_blockdim_kernelILj32ELj32Eii21rocsparse_complex_numIdES2_S2_S2_EEvb20rocsparse_direction_T2_S4_llNS_24const_host_device_scalarIT6_EEPKT1_PKS4_PKT3_S4_PKT4_llS7_PT5_ll16rocsparse_order_21rocsparse_index_base_b
                                        ; -- End function
	.set _ZN9rocsparseL29bsrmm_general_blockdim_kernelILj32ELj32Eii21rocsparse_complex_numIdES2_S2_S2_EEvb20rocsparse_direction_T2_S4_llNS_24const_host_device_scalarIT6_EEPKT1_PKS4_PKT3_S4_PKT4_llS7_PT5_ll16rocsparse_order_21rocsparse_index_base_b.num_vgpr, 50
	.set _ZN9rocsparseL29bsrmm_general_blockdim_kernelILj32ELj32Eii21rocsparse_complex_numIdES2_S2_S2_EEvb20rocsparse_direction_T2_S4_llNS_24const_host_device_scalarIT6_EEPKT1_PKS4_PKT3_S4_PKT4_llS7_PT5_ll16rocsparse_order_21rocsparse_index_base_b.num_agpr, 0
	.set _ZN9rocsparseL29bsrmm_general_blockdim_kernelILj32ELj32Eii21rocsparse_complex_numIdES2_S2_S2_EEvb20rocsparse_direction_T2_S4_llNS_24const_host_device_scalarIT6_EEPKT1_PKS4_PKT3_S4_PKT4_llS7_PT5_ll16rocsparse_order_21rocsparse_index_base_b.numbered_sgpr, 30
	.set _ZN9rocsparseL29bsrmm_general_blockdim_kernelILj32ELj32Eii21rocsparse_complex_numIdES2_S2_S2_EEvb20rocsparse_direction_T2_S4_llNS_24const_host_device_scalarIT6_EEPKT1_PKS4_PKT3_S4_PKT4_llS7_PT5_ll16rocsparse_order_21rocsparse_index_base_b.num_named_barrier, 0
	.set _ZN9rocsparseL29bsrmm_general_blockdim_kernelILj32ELj32Eii21rocsparse_complex_numIdES2_S2_S2_EEvb20rocsparse_direction_T2_S4_llNS_24const_host_device_scalarIT6_EEPKT1_PKS4_PKT3_S4_PKT4_llS7_PT5_ll16rocsparse_order_21rocsparse_index_base_b.private_seg_size, 0
	.set _ZN9rocsparseL29bsrmm_general_blockdim_kernelILj32ELj32Eii21rocsparse_complex_numIdES2_S2_S2_EEvb20rocsparse_direction_T2_S4_llNS_24const_host_device_scalarIT6_EEPKT1_PKS4_PKT3_S4_PKT4_llS7_PT5_ll16rocsparse_order_21rocsparse_index_base_b.uses_vcc, 1
	.set _ZN9rocsparseL29bsrmm_general_blockdim_kernelILj32ELj32Eii21rocsparse_complex_numIdES2_S2_S2_EEvb20rocsparse_direction_T2_S4_llNS_24const_host_device_scalarIT6_EEPKT1_PKS4_PKT3_S4_PKT4_llS7_PT5_ll16rocsparse_order_21rocsparse_index_base_b.uses_flat_scratch, 0
	.set _ZN9rocsparseL29bsrmm_general_blockdim_kernelILj32ELj32Eii21rocsparse_complex_numIdES2_S2_S2_EEvb20rocsparse_direction_T2_S4_llNS_24const_host_device_scalarIT6_EEPKT1_PKS4_PKT3_S4_PKT4_llS7_PT5_ll16rocsparse_order_21rocsparse_index_base_b.has_dyn_sized_stack, 0
	.set _ZN9rocsparseL29bsrmm_general_blockdim_kernelILj32ELj32Eii21rocsparse_complex_numIdES2_S2_S2_EEvb20rocsparse_direction_T2_S4_llNS_24const_host_device_scalarIT6_EEPKT1_PKS4_PKT3_S4_PKT4_llS7_PT5_ll16rocsparse_order_21rocsparse_index_base_b.has_recursion, 0
	.set _ZN9rocsparseL29bsrmm_general_blockdim_kernelILj32ELj32Eii21rocsparse_complex_numIdES2_S2_S2_EEvb20rocsparse_direction_T2_S4_llNS_24const_host_device_scalarIT6_EEPKT1_PKS4_PKT3_S4_PKT4_llS7_PT5_ll16rocsparse_order_21rocsparse_index_base_b.has_indirect_call, 0
	.section	.AMDGPU.csdata,"",@progbits
; Kernel info:
; codeLenInByte = 2132
; TotalNumSgprs: 32
; NumVgprs: 50
; ScratchSize: 0
; MemoryBound: 1
; FloatMode: 240
; IeeeMode: 1
; LDSByteSize: 32768 bytes/workgroup (compile time only)
; SGPRBlocks: 0
; VGPRBlocks: 3
; NumSGPRsForWavesPerEU: 32
; NumVGPRsForWavesPerEU: 50
; NamedBarCnt: 0
; Occupancy: 16
; WaveLimiterHint : 0
; COMPUTE_PGM_RSRC2:SCRATCH_EN: 0
; COMPUTE_PGM_RSRC2:USER_SGPR: 2
; COMPUTE_PGM_RSRC2:TRAP_HANDLER: 0
; COMPUTE_PGM_RSRC2:TGID_X_EN: 1
; COMPUTE_PGM_RSRC2:TGID_Y_EN: 1
; COMPUTE_PGM_RSRC2:TGID_Z_EN: 0
; COMPUTE_PGM_RSRC2:TIDIG_COMP_CNT: 1
	.section	.text._ZN9rocsparseL29bsrmm_general_blockdim_kernelILj32ELj32Eli21rocsparse_complex_numIdES2_S2_S2_EEvb20rocsparse_direction_T2_S4_llNS_24const_host_device_scalarIT6_EEPKT1_PKS4_PKT3_S4_PKT4_llS7_PT5_ll16rocsparse_order_21rocsparse_index_base_b,"axG",@progbits,_ZN9rocsparseL29bsrmm_general_blockdim_kernelILj32ELj32Eli21rocsparse_complex_numIdES2_S2_S2_EEvb20rocsparse_direction_T2_S4_llNS_24const_host_device_scalarIT6_EEPKT1_PKS4_PKT3_S4_PKT4_llS7_PT5_ll16rocsparse_order_21rocsparse_index_base_b,comdat
	.globl	_ZN9rocsparseL29bsrmm_general_blockdim_kernelILj32ELj32Eli21rocsparse_complex_numIdES2_S2_S2_EEvb20rocsparse_direction_T2_S4_llNS_24const_host_device_scalarIT6_EEPKT1_PKS4_PKT3_S4_PKT4_llS7_PT5_ll16rocsparse_order_21rocsparse_index_base_b ; -- Begin function _ZN9rocsparseL29bsrmm_general_blockdim_kernelILj32ELj32Eli21rocsparse_complex_numIdES2_S2_S2_EEvb20rocsparse_direction_T2_S4_llNS_24const_host_device_scalarIT6_EEPKT1_PKS4_PKT3_S4_PKT4_llS7_PT5_ll16rocsparse_order_21rocsparse_index_base_b
	.p2align	8
	.type	_ZN9rocsparseL29bsrmm_general_blockdim_kernelILj32ELj32Eli21rocsparse_complex_numIdES2_S2_S2_EEvb20rocsparse_direction_T2_S4_llNS_24const_host_device_scalarIT6_EEPKT1_PKS4_PKT3_S4_PKT4_llS7_PT5_ll16rocsparse_order_21rocsparse_index_base_b,@function
_ZN9rocsparseL29bsrmm_general_blockdim_kernelILj32ELj32Eli21rocsparse_complex_numIdES2_S2_S2_EEvb20rocsparse_direction_T2_S4_llNS_24const_host_device_scalarIT6_EEPKT1_PKS4_PKT3_S4_PKT4_llS7_PT5_ll16rocsparse_order_21rocsparse_index_base_b: ; @_ZN9rocsparseL29bsrmm_general_blockdim_kernelILj32ELj32Eli21rocsparse_complex_numIdES2_S2_S2_EEvb20rocsparse_direction_T2_S4_llNS_24const_host_device_scalarIT6_EEPKT1_PKS4_PKT3_S4_PKT4_llS7_PT5_ll16rocsparse_order_21rocsparse_index_base_b
; %bb.0:
	s_clause 0x1
	s_load_b96 s[20:22], s[0:1], 0x90
	s_load_b64 s[2:3], s[0:1], 0x20
	v_mov_b32_e32 v1, 0
	s_add_nc_u64 s[4:5], s[0:1], 32
	s_load_b64 s[6:7], s[0:1], 0x68
	s_wait_kmcnt 0x0
	s_bitcmp1_b32 s22, 0
	s_cselect_b32 s3, s5, s3
	s_cselect_b32 s2, s4, s2
	flat_load_b128 v[2:5], v1, s[2:3]
	s_wait_xcnt 0x0
	s_add_nc_u64 s[2:3], s[0:1], 0x68
	s_delay_alu instid0(SALU_CYCLE_1)
	s_cselect_b32 s3, s3, s7
	s_cselect_b32 s2, s2, s6
	flat_load_b128 v[6:9], v1, s[2:3]
	s_wait_loadcnt_dscnt 0x101
	v_cmp_eq_f64_e32 vcc_lo, 0, v[2:3]
	s_wait_xcnt 0x0
	v_cmp_eq_f64_e64 s2, 0, v[4:5]
	s_and_b32 s4, vcc_lo, s2
	s_mov_b32 s2, -1
	s_and_saveexec_b32 s3, s4
	s_cbranch_execz .LBB10_2
; %bb.1:
	s_wait_loadcnt_dscnt 0x0
	v_cmp_neq_f64_e32 vcc_lo, 1.0, v[6:7]
	v_cmp_neq_f64_e64 s2, 0, v[8:9]
	s_or_b32 s2, vcc_lo, s2
	s_delay_alu instid0(SALU_CYCLE_1)
	s_or_not1_b32 s2, s2, exec_lo
.LBB10_2:
	s_or_b32 exec_lo, exec_lo, s3
	s_and_saveexec_b32 s3, s2
	s_cbranch_execz .LBB10_52
; %bb.3:
	s_clause 0x1
	s_load_b128 s[16:19], s[0:1], 0x0
	s_load_b64 s[2:3], s[0:1], 0x30
	s_bfe_u32 s4, ttmp6, 0x4000c
	s_and_b32 s5, ttmp6, 15
	s_add_co_i32 s4, s4, 1
	s_getreg_b32 s12, hwreg(HW_REG_IB_STS2, 6, 4)
	s_mul_i32 s4, ttmp9, s4
	s_mov_b64 s[22:23], 0
	s_add_co_i32 s5, s5, s4
	s_cmp_eq_u32 s12, 0
	s_mov_b64 s[24:25], 0
	s_cselect_b32 s26, ttmp9, s5
	s_mov_b32 s5, 0
	s_wait_kmcnt 0x0
	s_cmp_lt_i32 s26, s18
	s_cselect_b32 s28, -1, 0
	s_cmp_ge_i32 s26, s18
	s_cbranch_scc0 .LBB10_6
; %bb.4:
	s_and_not1_b32 vcc_lo, exec_lo, s28
	s_cbranch_vccz .LBB10_7
.LBB10_5:
	s_load_b32 s18, s[0:1], 0x48
	s_wait_kmcnt 0x0
	s_cmp_lt_i32 s18, 1
	s_cbranch_scc0 .LBB10_8
	s_branch .LBB10_52
.LBB10_6:
	s_ashr_i32 s27, s26, 31
	s_mov_b32 s4, s21
	s_lshl_b64 s[6:7], s[26:27], 3
	s_delay_alu instid0(SALU_CYCLE_1)
	s_add_nc_u64 s[6:7], s[2:3], s[6:7]
	s_load_b64 s[6:7], s[6:7], 0x0
	s_wait_kmcnt 0x0
	s_sub_nc_u64 s[24:25], s[6:7], s[4:5]
	s_and_not1_b32 vcc_lo, exec_lo, s28
	s_cbranch_vccnz .LBB10_5
.LBB10_7:
	s_ashr_i32 s27, s26, 31
	s_delay_alu instid0(SALU_CYCLE_1) | instskip(NEXT) | instid1(SALU_CYCLE_1)
	s_lshl_b64 s[4:5], s[26:27], 3
	s_add_nc_u64 s[2:3], s[2:3], s[4:5]
	s_mov_b32 s5, 0
	s_load_b64 s[2:3], s[2:3], 0x8
	s_mov_b32 s4, s21
	s_wait_kmcnt 0x0
	s_sub_nc_u64 s[22:23], s[2:3], s[4:5]
	s_load_b32 s18, s[0:1], 0x48
	s_wait_kmcnt 0x0
	s_cmp_lt_i32 s18, 1
	s_cbranch_scc1 .LBB10_52
.LBB10_8:
	s_bitcmp1_b32 s16, 0
	s_load_b128 s[4:7], s[0:1], 0x78
	s_cselect_b32 s2, -1, 0
	s_bfe_u32 s3, ttmp6, 0x40010
	s_load_b128 s[8:11], s[0:1], 0x50
	s_add_co_i32 s3, s3, 1
	s_bfe_u32 s13, ttmp6, 0x40004
	s_mul_i32 s3, ttmp7, s3
	v_bfe_u32 v28, v0, 10, 10
	s_xor_b32 s16, s2, -1
	s_add_co_i32 s13, s13, s3
	s_cmp_eq_u32 s12, 0
	v_and_b32_e32 v29, 0x3ff, v0
	s_cselect_b32 s2, ttmp7, s13
	s_wait_loadcnt_dscnt 0x0
	v_cmp_neq_f64_e32 vcc_lo, 0, v[6:7]
	v_lshl_add_u32 v10, s2, 5, v28
	v_cmp_neq_f64_e64 s2, 0, v[8:9]
	s_load_b128 s[12:15], s[0:1], 0x38
	v_dual_lshlrev_b32 v30, 4, v29 :: v_dual_lshlrev_b32 v20, 9, v28
	v_ashrrev_i32_e32 v11, 31, v10
	s_wait_xcnt 0x0
	v_cmp_gt_i32_e64 s0, s19, v10
	v_cmp_lt_i64_e64 s27, s[24:25], s[22:23]
	v_or_b32_e32 v0, 0x4000, v30
	s_cmp_lg_u32 s17, 0
	s_wait_kmcnt 0x0
	v_mul_u64_e32 v[12:13], s[10:11], v[10:11]
	v_mul_u64_e32 v[18:19], s[6:7], v[10:11]
	v_lshlrev_b64_e32 v[14:15], 4, v[10:11]
	v_dual_add_nc_u32 v32, v0, v20 :: v_dual_add_nc_u32 v33, v30, v20
	v_add_nc_u32_e32 v31, 0x4000, v20
	s_cselect_b32 s17, -1, 0
	s_and_b32 s19, s28, s0
	s_mov_b32 s3, 0
	s_delay_alu instid0(VALU_DEP_3)
	v_add_nc_u64_e32 v[0:1], s[8:9], v[14:15]
	v_add_nc_u64_e32 v[14:15], s[4:5], v[14:15]
	s_mul_i32 s26, s18, s26
	s_mov_b32 s29, s3
	s_or_b32 s28, vcc_lo, s2
	s_cmp_lg_u32 s20, 1
	s_mul_i32 s2, s18, s18
	s_cselect_b32 s20, -1, 0
	v_lshl_add_u64 v[16:17], v[12:13], 4, s[8:9]
	v_lshl_add_u64 v[18:19], v[18:19], 4, s[4:5]
	s_branch .LBB10_10
.LBB10_9:                               ;   in Loop: Header=BB10_10 Depth=1
	s_wait_xcnt 0x0
	s_or_b32 exec_lo, exec_lo, s1
	s_add_co_i32 s29, s29, 32
	s_delay_alu instid0(SALU_CYCLE_1)
	s_cmp_lt_i32 s29, s18
	s_cbranch_scc0 .LBB10_52
.LBB10_10:                              ; =>This Loop Header: Depth=1
                                        ;     Child Loop BB10_12 Depth 2
                                        ;       Child Loop BB10_13 Depth 3
                                        ;         Child Loop BB10_38 Depth 4
	v_add_nc_u32_e32 v34, s29, v29
	v_mov_b64_e32 v[20:21], 0
	v_mov_b64_e32 v[22:23], 0
	s_and_not1_b32 vcc_lo, exec_lo, s27
	s_delay_alu instid0(VALU_DEP_3)
	v_cmp_gt_i32_e64 s1, s18, v34
	s_cbranch_vccnz .LBB10_41
; %bb.11:                               ;   in Loop: Header=BB10_10 Depth=1
	v_mul_lo_u32 v35, v34, s18
	v_mov_b64_e32 v[20:21], 0
	v_mov_b64_e32 v[22:23], 0
	s_mov_b64 s[4:5], s[24:25]
.LBB10_12:                              ;   Parent Loop BB10_10 Depth=1
                                        ; =>  This Loop Header: Depth=2
                                        ;       Child Loop BB10_13 Depth 3
                                        ;         Child Loop BB10_38 Depth 4
	s_delay_alu instid0(SALU_CYCLE_1)
	s_lshl_b64 s[8:9], s[4:5], 2
	s_mov_b32 s31, 0
	s_add_nc_u64 s[8:9], s[12:13], s[8:9]
	s_load_b32 s30, s[8:9], 0x0
	s_wait_xcnt 0x0
	s_mul_u64 s[8:9], s[4:5], s[2:3]
	s_delay_alu instid0(SALU_CYCLE_1) | instskip(NEXT) | instid1(SALU_CYCLE_1)
	s_lshl_b64 s[8:9], s[8:9], 4
	s_add_nc_u64 s[8:9], s[14:15], s[8:9]
	s_wait_kmcnt 0x0
	s_sub_co_i32 s30, s30, s21
	s_delay_alu instid0(SALU_CYCLE_1)
	s_mul_i32 s30, s30, s18
.LBB10_13:                              ;   Parent Loop BB10_10 Depth=1
                                        ;     Parent Loop BB10_12 Depth=2
                                        ; =>    This Loop Header: Depth=3
                                        ;         Child Loop BB10_38 Depth 4
	s_mov_b32 s34, -1
	s_and_b32 vcc_lo, exec_lo, s16
	s_mov_b32 s33, 0
                                        ; implicit-def: $vgpr24_vgpr25
	s_cbranch_vccnz .LBB10_23
; %bb.14:                               ;   in Loop: Header=BB10_13 Depth=3
	s_and_b32 vcc_lo, exec_lo, s34
	s_cbranch_vccnz .LBB10_28
.LBB10_15:                              ;   in Loop: Header=BB10_13 Depth=3
	v_mov_b64_e32 v[10:11], 0
	v_mov_b64_e32 v[12:13], 0
	s_and_saveexec_b32 s34, s33
	s_cbranch_execnz .LBB10_33
.LBB10_16:                              ;   in Loop: Header=BB10_13 Depth=3
	s_or_b32 exec_lo, exec_lo, s34
	s_delay_alu instid0(SALU_CYCLE_1)
	s_and_b32 vcc_lo, exec_lo, s17
	ds_store_b128 v32, v[10:13]
	s_cbranch_vccz .LBB10_34
.LBB10_17:                              ;   in Loop: Header=BB10_13 Depth=3
	s_mov_b32 s33, 0
	s_mov_b32 s34, 0
                                        ; implicit-def: $vgpr24
	s_and_saveexec_b32 s35, s1
	s_cbranch_execz .LBB10_21
; %bb.18:                               ;   in Loop: Header=BB10_13 Depth=3
	v_add_nc_u32_e32 v10, s31, v28
	s_mov_b32 s36, exec_lo
                                        ; implicit-def: $vgpr24
	s_delay_alu instid0(VALU_DEP_1)
	v_cmpx_gt_i32_e64 s18, v10
	s_xor_b32 s36, exec_lo, s36
; %bb.19:                               ;   in Loop: Header=BB10_13 Depth=3
	s_mov_b32 s34, exec_lo
	v_mul_lo_u32 v24, v10, s18
; %bb.20:                               ;   in Loop: Header=BB10_13 Depth=3
	s_or_b32 exec_lo, exec_lo, s36
	s_delay_alu instid0(SALU_CYCLE_1)
	s_and_b32 s34, s34, exec_lo
.LBB10_21:                              ;   in Loop: Header=BB10_13 Depth=3
	s_or_b32 exec_lo, exec_lo, s35
	s_delay_alu instid0(SALU_CYCLE_1)
	s_and_b32 vcc_lo, exec_lo, s33
	s_cbranch_vccz .LBB10_35
.LBB10_22:                              ;   in Loop: Header=BB10_13 Depth=3
	v_dual_add_nc_u32 v24, s31, v28 :: v_dual_mov_b32 v26, v35
	s_and_not1_b32 s34, s34, exec_lo
	s_delay_alu instid0(VALU_DEP_1) | instskip(SKIP_1) | instid1(SALU_CYCLE_1)
	v_cmp_gt_i32_e32 vcc_lo, s18, v24
	s_and_b32 s33, s1, vcc_lo
	s_and_b32 s33, s33, exec_lo
	s_delay_alu instid0(SALU_CYCLE_1)
	s_or_b32 s34, s34, s33
	v_mov_b64_e32 v[10:11], 0
	v_mov_b64_e32 v[12:13], 0
	s_and_saveexec_b32 s33, s34
	s_cbranch_execnz .LBB10_36
	s_branch .LBB10_37
.LBB10_23:                              ;   in Loop: Header=BB10_13 Depth=3
	s_mov_b32 s34, 0
                                        ; implicit-def: $vgpr24_vgpr25
	s_and_saveexec_b32 s35, s0
	s_cbranch_execz .LBB10_27
; %bb.24:                               ;   in Loop: Header=BB10_13 Depth=3
	v_add_nc_u32_e32 v10, s31, v29
	s_mov_b32 s36, exec_lo
                                        ; implicit-def: $vgpr24_vgpr25
	s_delay_alu instid0(VALU_DEP_1)
	v_cmpx_gt_i32_e64 s18, v10
	s_xor_b32 s36, exec_lo, s36
	s_cbranch_execz .LBB10_26
; %bb.25:                               ;   in Loop: Header=BB10_13 Depth=3
	v_add_nc_u32_e32 v10, s30, v10
	s_mov_b32 s33, exec_lo
	s_delay_alu instid0(VALU_DEP_1) | instskip(NEXT) | instid1(VALU_DEP_1)
	v_ashrrev_i32_e32 v11, 31, v10
	v_mul_u64_e32 v[10:11], s[10:11], v[10:11]
	s_delay_alu instid0(VALU_DEP_1)
	v_lshl_add_u64 v[24:25], v[10:11], 4, v[0:1]
.LBB10_26:                              ;   in Loop: Header=BB10_13 Depth=3
	s_or_b32 exec_lo, exec_lo, s36
	s_delay_alu instid0(SALU_CYCLE_1)
	s_and_b32 s33, s33, exec_lo
.LBB10_27:                              ;   in Loop: Header=BB10_13 Depth=3
	s_or_b32 exec_lo, exec_lo, s35
	s_delay_alu instid0(SALU_CYCLE_1)
	s_and_b32 vcc_lo, exec_lo, s34
	s_cbranch_vccz .LBB10_15
.LBB10_28:                              ;   in Loop: Header=BB10_13 Depth=3
                                        ; implicit-def: $vgpr24_vgpr25
	s_and_saveexec_b32 s34, s0
	s_cbranch_execz .LBB10_32
; %bb.29:                               ;   in Loop: Header=BB10_13 Depth=3
	v_add_nc_u32_e32 v10, s31, v29
	s_mov_b32 s36, s33
	s_mov_b32 s35, exec_lo
                                        ; implicit-def: $vgpr24_vgpr25
	s_delay_alu instid0(VALU_DEP_1)
	v_cmpx_gt_i32_e64 s18, v10
; %bb.30:                               ;   in Loop: Header=BB10_13 Depth=3
	v_add_nc_u32_e32 v10, s30, v10
	s_or_b32 s36, s33, exec_lo
	s_delay_alu instid0(VALU_DEP_1) | instskip(NEXT) | instid1(VALU_DEP_1)
	v_ashrrev_i32_e32 v11, 31, v10
	v_lshl_add_u64 v[24:25], v[10:11], 4, v[16:17]
; %bb.31:                               ;   in Loop: Header=BB10_13 Depth=3
	s_or_b32 exec_lo, exec_lo, s35
	s_delay_alu instid0(SALU_CYCLE_1) | instskip(SKIP_1) | instid1(SALU_CYCLE_1)
	s_and_not1_b32 s33, s33, exec_lo
	s_and_b32 s35, s36, exec_lo
	s_or_b32 s33, s33, s35
.LBB10_32:                              ;   in Loop: Header=BB10_13 Depth=3
	s_or_b32 exec_lo, exec_lo, s34
	v_mov_b64_e32 v[10:11], 0
	v_mov_b64_e32 v[12:13], 0
	s_and_saveexec_b32 s34, s33
	s_cbranch_execz .LBB10_16
.LBB10_33:                              ;   in Loop: Header=BB10_13 Depth=3
	global_load_b128 v[10:13], v[24:25], off
	s_wait_xcnt 0x0
	s_or_b32 exec_lo, exec_lo, s34
	s_delay_alu instid0(SALU_CYCLE_1)
	s_and_b32 vcc_lo, exec_lo, s17
	s_wait_loadcnt 0x0
	ds_store_b128 v32, v[10:13]
	s_cbranch_vccnz .LBB10_17
.LBB10_34:                              ;   in Loop: Header=BB10_13 Depth=3
	s_mov_b32 s34, 0
                                        ; implicit-def: $vgpr24
	s_cbranch_execnz .LBB10_22
.LBB10_35:                              ;   in Loop: Header=BB10_13 Depth=3
	v_mov_b32_e32 v26, v34
	v_mov_b64_e32 v[10:11], 0
	v_mov_b64_e32 v[12:13], 0
	s_and_saveexec_b32 s33, s34
	s_cbranch_execz .LBB10_37
.LBB10_36:                              ;   in Loop: Header=BB10_13 Depth=3
	v_dual_ashrrev_i32 v27, 31, v26 :: v_dual_ashrrev_i32 v25, 31, v24
	s_delay_alu instid0(VALU_DEP_1) | instskip(NEXT) | instid1(VALU_DEP_1)
	v_lshl_add_u64 v[10:11], v[26:27], 4, s[8:9]
	v_lshl_add_u64 v[10:11], v[24:25], 4, v[10:11]
	global_load_b128 v[10:13], v[10:11], off
.LBB10_37:                              ;   in Loop: Header=BB10_13 Depth=3
	s_wait_xcnt 0x0
	s_or_b32 exec_lo, exec_lo, s33
	s_wait_loadcnt 0x0
	ds_store_b128 v33, v[10:13]
	v_mov_b32_e32 v10, v30
	s_mov_b32 s33, 0
	s_wait_dscnt 0x0
	s_barrier_signal -1
	s_barrier_wait -1
.LBB10_38:                              ;   Parent Loop BB10_10 Depth=1
                                        ;     Parent Loop BB10_12 Depth=2
                                        ;       Parent Loop BB10_13 Depth=3
                                        ; =>      This Inner Loop Header: Depth=4
	v_add_nc_u32_e32 v11, s33, v31
	s_addk_co_i32 s33, 0x80
	ds_load_b128 v[24:27], v10
	ds_load_b128 v[36:39], v11
	ds_load_b128 v[40:43], v10 offset:512
	ds_load_b128 v[44:47], v11 offset:16
	s_cmp_eq_u32 s33, 0x200
	s_wait_dscnt 0x2
	v_fmac_f64_e32 v[22:23], v[24:25], v[36:37]
	v_fmac_f64_e32 v[20:21], v[26:27], v[36:37]
	s_delay_alu instid0(VALU_DEP_2) | instskip(NEXT) | instid1(VALU_DEP_2)
	v_fma_f64 v[12:13], -v[26:27], v[38:39], v[22:23]
	v_fmac_f64_e32 v[20:21], v[24:25], v[38:39]
	s_wait_dscnt 0x0
	s_delay_alu instid0(VALU_DEP_2) | instskip(NEXT) | instid1(VALU_DEP_2)
	v_fmac_f64_e32 v[12:13], v[40:41], v[44:45]
	v_fmac_f64_e32 v[20:21], v[42:43], v[44:45]
	s_delay_alu instid0(VALU_DEP_2) | instskip(NEXT) | instid1(VALU_DEP_2)
	v_fma_f64 v[12:13], -v[42:43], v[46:47], v[12:13]
	v_fmac_f64_e32 v[20:21], v[40:41], v[46:47]
	ds_load_b128 v[22:25], v10 offset:1024
	ds_load_b128 v[36:39], v11 offset:32
	ds_load_b128 v[40:43], v10 offset:1536
	ds_load_b128 v[44:47], v11 offset:48
	s_wait_dscnt 0x2
	v_fmac_f64_e32 v[12:13], v[22:23], v[36:37]
	v_fmac_f64_e32 v[20:21], v[24:25], v[36:37]
	s_delay_alu instid0(VALU_DEP_2) | instskip(NEXT) | instid1(VALU_DEP_2)
	v_fma_f64 v[12:13], -v[24:25], v[38:39], v[12:13]
	v_fmac_f64_e32 v[20:21], v[22:23], v[38:39]
	s_wait_dscnt 0x0
	s_delay_alu instid0(VALU_DEP_2) | instskip(NEXT) | instid1(VALU_DEP_2)
	v_fmac_f64_e32 v[12:13], v[40:41], v[44:45]
	v_fmac_f64_e32 v[20:21], v[42:43], v[44:45]
	s_delay_alu instid0(VALU_DEP_2) | instskip(NEXT) | instid1(VALU_DEP_2)
	v_fma_f64 v[12:13], -v[42:43], v[46:47], v[12:13]
	v_fmac_f64_e32 v[20:21], v[40:41], v[46:47]
	ds_load_b128 v[22:25], v10 offset:2048
	ds_load_b128 v[36:39], v11 offset:64
	ds_load_b128 v[40:43], v10 offset:2560
	ds_load_b128 v[44:47], v11 offset:80
	;; [unrolled: 17-line block ×3, first 2 shown]
	v_add_nc_u32_e32 v10, 0x1000, v10
	s_wait_dscnt 0x2
	v_fmac_f64_e32 v[12:13], v[22:23], v[36:37]
	v_fmac_f64_e32 v[20:21], v[24:25], v[36:37]
	s_delay_alu instid0(VALU_DEP_2) | instskip(NEXT) | instid1(VALU_DEP_2)
	v_fma_f64 v[12:13], -v[24:25], v[38:39], v[12:13]
	v_fmac_f64_e32 v[20:21], v[22:23], v[38:39]
	s_wait_dscnt 0x0
	s_delay_alu instid0(VALU_DEP_2) | instskip(NEXT) | instid1(VALU_DEP_2)
	v_fmac_f64_e32 v[12:13], v[40:41], v[44:45]
	v_fmac_f64_e32 v[20:21], v[42:43], v[44:45]
	s_delay_alu instid0(VALU_DEP_2) | instskip(NEXT) | instid1(VALU_DEP_2)
	v_fma_f64 v[22:23], -v[42:43], v[46:47], v[12:13]
	v_fmac_f64_e32 v[20:21], v[40:41], v[46:47]
	s_cbranch_scc0 .LBB10_38
; %bb.39:                               ;   in Loop: Header=BB10_13 Depth=3
	s_add_co_i32 s31, s31, 32
	s_delay_alu instid0(SALU_CYCLE_1)
	s_cmp_ge_i32 s31, s18
	s_barrier_signal -1
	s_barrier_wait -1
	s_cbranch_scc0 .LBB10_13
; %bb.40:                               ;   in Loop: Header=BB10_12 Depth=2
	s_add_nc_u64 s[4:5], s[4:5], 1
	s_delay_alu instid0(SALU_CYCLE_1)
	v_cmp_ge_i64_e64 s8, s[4:5], s[22:23]
	s_and_b32 vcc_lo, exec_lo, s8
	s_cbranch_vccz .LBB10_12
.LBB10_41:                              ;   in Loop: Header=BB10_10 Depth=1
	v_cmp_gt_i32_e32 vcc_lo, s18, v34
	s_and_b32 s4, s19, vcc_lo
	s_delay_alu instid0(SALU_CYCLE_1)
	s_and_saveexec_b32 s1, s4
	s_cbranch_execz .LBB10_9
; %bb.42:                               ;   in Loop: Header=BB10_10 Depth=1
	v_add_nc_u32_e32 v24, s26, v34
	s_delay_alu instid0(VALU_DEP_1) | instskip(SKIP_1) | instid1(SALU_CYCLE_1)
	v_ashrrev_i32_e32 v25, 31, v24
	s_and_saveexec_b32 s4, s28
	s_xor_b32 s4, exec_lo, s4
	s_cbranch_execz .LBB10_47
; %bb.43:                               ;   in Loop: Header=BB10_10 Depth=1
	s_and_b32 vcc_lo, exec_lo, s20
	s_mov_b32 s5, -1
	s_cbranch_vccz .LBB10_45
; %bb.44:                               ;   in Loop: Header=BB10_10 Depth=1
	v_mul_u64_e32 v[10:11], s[6:7], v[24:25]
	v_mul_f64_e64 v[34:35], v[20:21], -v[4:5]
	v_mul_f64_e32 v[36:37], v[2:3], v[20:21]
	s_mov_b32 s5, 0
	s_delay_alu instid0(VALU_DEP_3) | instskip(NEXT) | instid1(VALU_DEP_3)
	v_lshl_add_u64 v[26:27], v[10:11], 4, v[14:15]
	v_fmac_f64_e32 v[34:35], v[2:3], v[22:23]
	s_delay_alu instid0(VALU_DEP_3) | instskip(SKIP_4) | instid1(VALU_DEP_2)
	v_fmac_f64_e32 v[36:37], v[4:5], v[22:23]
	global_load_b128 v[10:13], v[26:27], off
	s_wait_loadcnt 0x0
	v_fmac_f64_e32 v[34:35], v[6:7], v[10:11]
	v_fmac_f64_e32 v[36:37], v[8:9], v[10:11]
	v_fma_f64 v[34:35], -v[8:9], v[12:13], v[34:35]
	s_delay_alu instid0(VALU_DEP_2)
	v_fmac_f64_e32 v[36:37], v[6:7], v[12:13]
	global_store_b128 v[26:27], v[34:37], off
.LBB10_45:                              ;   in Loop: Header=BB10_10 Depth=1
	s_and_not1_b32 vcc_lo, exec_lo, s5
	s_cbranch_vccnz .LBB10_47
; %bb.46:                               ;   in Loop: Header=BB10_10 Depth=1
	s_wait_xcnt 0x0
	v_lshl_add_u64 v[26:27], v[24:25], 4, v[18:19]
	v_mul_f64_e64 v[34:35], v[20:21], -v[4:5]
	v_mul_f64_e32 v[24:25], v[2:3], v[20:21]
                                        ; implicit-def: $vgpr20_vgpr21
	global_load_b128 v[10:13], v[26:27], off
	v_fmac_f64_e32 v[34:35], v[2:3], v[22:23]
	v_fmac_f64_e32 v[24:25], v[4:5], v[22:23]
	s_wait_loadcnt 0x0
	s_delay_alu instid0(VALU_DEP_2) | instskip(NEXT) | instid1(VALU_DEP_2)
	v_fmac_f64_e32 v[34:35], v[6:7], v[10:11]
	v_fmac_f64_e32 v[24:25], v[8:9], v[10:11]
	s_delay_alu instid0(VALU_DEP_2) | instskip(NEXT) | instid1(VALU_DEP_2)
	v_fma_f64 v[22:23], -v[8:9], v[12:13], v[34:35]
	v_fmac_f64_e32 v[24:25], v[6:7], v[12:13]
	global_store_b128 v[26:27], v[22:25], off
                                        ; implicit-def: $vgpr22_vgpr23
                                        ; implicit-def: $vgpr24
.LBB10_47:                              ;   in Loop: Header=BB10_10 Depth=1
	s_wait_xcnt 0x0
	s_and_not1_saveexec_b32 s4, s4
	s_cbranch_execz .LBB10_9
; %bb.48:                               ;   in Loop: Header=BB10_10 Depth=1
	v_mul_f64_e64 v[10:11], v[20:21], -v[4:5]
	v_mul_f64_e32 v[12:13], v[2:3], v[20:21]
	s_and_b32 vcc_lo, exec_lo, s20
	s_mov_b32 s4, -1
	s_delay_alu instid0(VALU_DEP_2) | instskip(NEXT) | instid1(VALU_DEP_2)
	v_fmac_f64_e32 v[10:11], v[2:3], v[22:23]
	v_fmac_f64_e32 v[12:13], v[4:5], v[22:23]
	s_cbranch_vccz .LBB10_50
; %bb.49:                               ;   in Loop: Header=BB10_10 Depth=1
	v_mul_u64_e32 v[20:21], s[6:7], v[24:25]
	s_mov_b32 s4, 0
	s_delay_alu instid0(VALU_DEP_1)
	v_lshl_add_u64 v[20:21], v[20:21], 4, v[14:15]
	global_store_b128 v[20:21], v[10:13], off
.LBB10_50:                              ;   in Loop: Header=BB10_10 Depth=1
	s_and_not1_b32 vcc_lo, exec_lo, s4
	s_cbranch_vccnz .LBB10_9
; %bb.51:                               ;   in Loop: Header=BB10_10 Depth=1
	s_wait_xcnt 0x0
	v_lshl_add_u64 v[20:21], v[24:25], 4, v[18:19]
	global_store_b128 v[20:21], v[10:13], off
	s_branch .LBB10_9
.LBB10_52:
	s_endpgm
	.section	.rodata,"a",@progbits
	.p2align	6, 0x0
	.amdhsa_kernel _ZN9rocsparseL29bsrmm_general_blockdim_kernelILj32ELj32Eli21rocsparse_complex_numIdES2_S2_S2_EEvb20rocsparse_direction_T2_S4_llNS_24const_host_device_scalarIT6_EEPKT1_PKS4_PKT3_S4_PKT4_llS7_PT5_ll16rocsparse_order_21rocsparse_index_base_b
		.amdhsa_group_segment_fixed_size 32768
		.amdhsa_private_segment_fixed_size 0
		.amdhsa_kernarg_size 156
		.amdhsa_user_sgpr_count 2
		.amdhsa_user_sgpr_dispatch_ptr 0
		.amdhsa_user_sgpr_queue_ptr 0
		.amdhsa_user_sgpr_kernarg_segment_ptr 1
		.amdhsa_user_sgpr_dispatch_id 0
		.amdhsa_user_sgpr_kernarg_preload_length 0
		.amdhsa_user_sgpr_kernarg_preload_offset 0
		.amdhsa_user_sgpr_private_segment_size 0
		.amdhsa_wavefront_size32 1
		.amdhsa_uses_dynamic_stack 0
		.amdhsa_enable_private_segment 0
		.amdhsa_system_sgpr_workgroup_id_x 1
		.amdhsa_system_sgpr_workgroup_id_y 1
		.amdhsa_system_sgpr_workgroup_id_z 0
		.amdhsa_system_sgpr_workgroup_info 0
		.amdhsa_system_vgpr_workitem_id 1
		.amdhsa_next_free_vgpr 48
		.amdhsa_next_free_sgpr 37
		.amdhsa_named_barrier_count 0
		.amdhsa_reserve_vcc 1
		.amdhsa_float_round_mode_32 0
		.amdhsa_float_round_mode_16_64 0
		.amdhsa_float_denorm_mode_32 3
		.amdhsa_float_denorm_mode_16_64 3
		.amdhsa_fp16_overflow 0
		.amdhsa_memory_ordered 1
		.amdhsa_forward_progress 1
		.amdhsa_inst_pref_size 17
		.amdhsa_round_robin_scheduling 0
		.amdhsa_exception_fp_ieee_invalid_op 0
		.amdhsa_exception_fp_denorm_src 0
		.amdhsa_exception_fp_ieee_div_zero 0
		.amdhsa_exception_fp_ieee_overflow 0
		.amdhsa_exception_fp_ieee_underflow 0
		.amdhsa_exception_fp_ieee_inexact 0
		.amdhsa_exception_int_div_zero 0
	.end_amdhsa_kernel
	.section	.text._ZN9rocsparseL29bsrmm_general_blockdim_kernelILj32ELj32Eli21rocsparse_complex_numIdES2_S2_S2_EEvb20rocsparse_direction_T2_S4_llNS_24const_host_device_scalarIT6_EEPKT1_PKS4_PKT3_S4_PKT4_llS7_PT5_ll16rocsparse_order_21rocsparse_index_base_b,"axG",@progbits,_ZN9rocsparseL29bsrmm_general_blockdim_kernelILj32ELj32Eli21rocsparse_complex_numIdES2_S2_S2_EEvb20rocsparse_direction_T2_S4_llNS_24const_host_device_scalarIT6_EEPKT1_PKS4_PKT3_S4_PKT4_llS7_PT5_ll16rocsparse_order_21rocsparse_index_base_b,comdat
.Lfunc_end10:
	.size	_ZN9rocsparseL29bsrmm_general_blockdim_kernelILj32ELj32Eli21rocsparse_complex_numIdES2_S2_S2_EEvb20rocsparse_direction_T2_S4_llNS_24const_host_device_scalarIT6_EEPKT1_PKS4_PKT3_S4_PKT4_llS7_PT5_ll16rocsparse_order_21rocsparse_index_base_b, .Lfunc_end10-_ZN9rocsparseL29bsrmm_general_blockdim_kernelILj32ELj32Eli21rocsparse_complex_numIdES2_S2_S2_EEvb20rocsparse_direction_T2_S4_llNS_24const_host_device_scalarIT6_EEPKT1_PKS4_PKT3_S4_PKT4_llS7_PT5_ll16rocsparse_order_21rocsparse_index_base_b
                                        ; -- End function
	.set _ZN9rocsparseL29bsrmm_general_blockdim_kernelILj32ELj32Eli21rocsparse_complex_numIdES2_S2_S2_EEvb20rocsparse_direction_T2_S4_llNS_24const_host_device_scalarIT6_EEPKT1_PKS4_PKT3_S4_PKT4_llS7_PT5_ll16rocsparse_order_21rocsparse_index_base_b.num_vgpr, 48
	.set _ZN9rocsparseL29bsrmm_general_blockdim_kernelILj32ELj32Eli21rocsparse_complex_numIdES2_S2_S2_EEvb20rocsparse_direction_T2_S4_llNS_24const_host_device_scalarIT6_EEPKT1_PKS4_PKT3_S4_PKT4_llS7_PT5_ll16rocsparse_order_21rocsparse_index_base_b.num_agpr, 0
	.set _ZN9rocsparseL29bsrmm_general_blockdim_kernelILj32ELj32Eli21rocsparse_complex_numIdES2_S2_S2_EEvb20rocsparse_direction_T2_S4_llNS_24const_host_device_scalarIT6_EEPKT1_PKS4_PKT3_S4_PKT4_llS7_PT5_ll16rocsparse_order_21rocsparse_index_base_b.numbered_sgpr, 37
	.set _ZN9rocsparseL29bsrmm_general_blockdim_kernelILj32ELj32Eli21rocsparse_complex_numIdES2_S2_S2_EEvb20rocsparse_direction_T2_S4_llNS_24const_host_device_scalarIT6_EEPKT1_PKS4_PKT3_S4_PKT4_llS7_PT5_ll16rocsparse_order_21rocsparse_index_base_b.num_named_barrier, 0
	.set _ZN9rocsparseL29bsrmm_general_blockdim_kernelILj32ELj32Eli21rocsparse_complex_numIdES2_S2_S2_EEvb20rocsparse_direction_T2_S4_llNS_24const_host_device_scalarIT6_EEPKT1_PKS4_PKT3_S4_PKT4_llS7_PT5_ll16rocsparse_order_21rocsparse_index_base_b.private_seg_size, 0
	.set _ZN9rocsparseL29bsrmm_general_blockdim_kernelILj32ELj32Eli21rocsparse_complex_numIdES2_S2_S2_EEvb20rocsparse_direction_T2_S4_llNS_24const_host_device_scalarIT6_EEPKT1_PKS4_PKT3_S4_PKT4_llS7_PT5_ll16rocsparse_order_21rocsparse_index_base_b.uses_vcc, 1
	.set _ZN9rocsparseL29bsrmm_general_blockdim_kernelILj32ELj32Eli21rocsparse_complex_numIdES2_S2_S2_EEvb20rocsparse_direction_T2_S4_llNS_24const_host_device_scalarIT6_EEPKT1_PKS4_PKT3_S4_PKT4_llS7_PT5_ll16rocsparse_order_21rocsparse_index_base_b.uses_flat_scratch, 0
	.set _ZN9rocsparseL29bsrmm_general_blockdim_kernelILj32ELj32Eli21rocsparse_complex_numIdES2_S2_S2_EEvb20rocsparse_direction_T2_S4_llNS_24const_host_device_scalarIT6_EEPKT1_PKS4_PKT3_S4_PKT4_llS7_PT5_ll16rocsparse_order_21rocsparse_index_base_b.has_dyn_sized_stack, 0
	.set _ZN9rocsparseL29bsrmm_general_blockdim_kernelILj32ELj32Eli21rocsparse_complex_numIdES2_S2_S2_EEvb20rocsparse_direction_T2_S4_llNS_24const_host_device_scalarIT6_EEPKT1_PKS4_PKT3_S4_PKT4_llS7_PT5_ll16rocsparse_order_21rocsparse_index_base_b.has_recursion, 0
	.set _ZN9rocsparseL29bsrmm_general_blockdim_kernelILj32ELj32Eli21rocsparse_complex_numIdES2_S2_S2_EEvb20rocsparse_direction_T2_S4_llNS_24const_host_device_scalarIT6_EEPKT1_PKS4_PKT3_S4_PKT4_llS7_PT5_ll16rocsparse_order_21rocsparse_index_base_b.has_indirect_call, 0
	.section	.AMDGPU.csdata,"",@progbits
; Kernel info:
; codeLenInByte = 2168
; TotalNumSgprs: 39
; NumVgprs: 48
; ScratchSize: 0
; MemoryBound: 1
; FloatMode: 240
; IeeeMode: 1
; LDSByteSize: 32768 bytes/workgroup (compile time only)
; SGPRBlocks: 0
; VGPRBlocks: 2
; NumSGPRsForWavesPerEU: 39
; NumVGPRsForWavesPerEU: 48
; NamedBarCnt: 0
; Occupancy: 16
; WaveLimiterHint : 0
; COMPUTE_PGM_RSRC2:SCRATCH_EN: 0
; COMPUTE_PGM_RSRC2:USER_SGPR: 2
; COMPUTE_PGM_RSRC2:TRAP_HANDLER: 0
; COMPUTE_PGM_RSRC2:TGID_X_EN: 1
; COMPUTE_PGM_RSRC2:TGID_Y_EN: 1
; COMPUTE_PGM_RSRC2:TGID_Z_EN: 0
; COMPUTE_PGM_RSRC2:TIDIG_COMP_CNT: 1
	.section	.text._ZN9rocsparseL29bsrmm_general_blockdim_kernelILj32ELj32Ell21rocsparse_complex_numIdES2_S2_S2_EEvb20rocsparse_direction_T2_S4_llNS_24const_host_device_scalarIT6_EEPKT1_PKS4_PKT3_S4_PKT4_llS7_PT5_ll16rocsparse_order_21rocsparse_index_base_b,"axG",@progbits,_ZN9rocsparseL29bsrmm_general_blockdim_kernelILj32ELj32Ell21rocsparse_complex_numIdES2_S2_S2_EEvb20rocsparse_direction_T2_S4_llNS_24const_host_device_scalarIT6_EEPKT1_PKS4_PKT3_S4_PKT4_llS7_PT5_ll16rocsparse_order_21rocsparse_index_base_b,comdat
	.globl	_ZN9rocsparseL29bsrmm_general_blockdim_kernelILj32ELj32Ell21rocsparse_complex_numIdES2_S2_S2_EEvb20rocsparse_direction_T2_S4_llNS_24const_host_device_scalarIT6_EEPKT1_PKS4_PKT3_S4_PKT4_llS7_PT5_ll16rocsparse_order_21rocsparse_index_base_b ; -- Begin function _ZN9rocsparseL29bsrmm_general_blockdim_kernelILj32ELj32Ell21rocsparse_complex_numIdES2_S2_S2_EEvb20rocsparse_direction_T2_S4_llNS_24const_host_device_scalarIT6_EEPKT1_PKS4_PKT3_S4_PKT4_llS7_PT5_ll16rocsparse_order_21rocsparse_index_base_b
	.p2align	8
	.type	_ZN9rocsparseL29bsrmm_general_blockdim_kernelILj32ELj32Ell21rocsparse_complex_numIdES2_S2_S2_EEvb20rocsparse_direction_T2_S4_llNS_24const_host_device_scalarIT6_EEPKT1_PKS4_PKT3_S4_PKT4_llS7_PT5_ll16rocsparse_order_21rocsparse_index_base_b,@function
_ZN9rocsparseL29bsrmm_general_blockdim_kernelILj32ELj32Ell21rocsparse_complex_numIdES2_S2_S2_EEvb20rocsparse_direction_T2_S4_llNS_24const_host_device_scalarIT6_EEPKT1_PKS4_PKT3_S4_PKT4_llS7_PT5_ll16rocsparse_order_21rocsparse_index_base_b: ; @_ZN9rocsparseL29bsrmm_general_blockdim_kernelILj32ELj32Ell21rocsparse_complex_numIdES2_S2_S2_EEvb20rocsparse_direction_T2_S4_llNS_24const_host_device_scalarIT6_EEPKT1_PKS4_PKT3_S4_PKT4_llS7_PT5_ll16rocsparse_order_21rocsparse_index_base_b
; %bb.0:
	s_clause 0x1
	s_load_b96 s[20:22], s[0:1], 0x98
	s_load_b64 s[2:3], s[0:1], 0x28
	v_mov_b32_e32 v1, 0
	s_add_nc_u64 s[4:5], s[0:1], 40
	s_load_b64 s[6:7], s[0:1], 0x70
	s_wait_kmcnt 0x0
	s_bitcmp1_b32 s22, 0
	s_cselect_b32 s3, s5, s3
	s_cselect_b32 s2, s4, s2
	flat_load_b128 v[2:5], v1, s[2:3]
	s_wait_xcnt 0x0
	s_add_nc_u64 s[2:3], s[0:1], 0x70
	s_delay_alu instid0(SALU_CYCLE_1)
	s_cselect_b32 s3, s3, s7
	s_cselect_b32 s2, s2, s6
	flat_load_b128 v[6:9], v1, s[2:3]
	s_wait_loadcnt_dscnt 0x101
	v_cmp_eq_f64_e32 vcc_lo, 0, v[2:3]
	s_wait_xcnt 0x0
	v_cmp_eq_f64_e64 s2, 0, v[4:5]
	s_and_b32 s4, vcc_lo, s2
	s_mov_b32 s2, -1
	s_and_saveexec_b32 s3, s4
	s_cbranch_execz .LBB11_2
; %bb.1:
	s_wait_loadcnt_dscnt 0x0
	v_cmp_neq_f64_e32 vcc_lo, 1.0, v[6:7]
	v_cmp_neq_f64_e64 s2, 0, v[8:9]
	s_or_b32 s2, vcc_lo, s2
	s_delay_alu instid0(SALU_CYCLE_1)
	s_or_not1_b32 s2, s2, exec_lo
.LBB11_2:
	s_or_b32 exec_lo, exec_lo, s3
	s_and_saveexec_b32 s3, s2
	s_cbranch_execz .LBB11_56
; %bb.3:
	s_clause 0x1
	s_load_b128 s[16:19], s[0:1], 0x8
	s_load_b64 s[2:3], s[0:1], 0x38
	s_bfe_u32 s4, ttmp6, 0x4000c
	s_and_b32 s5, ttmp6, 15
	s_add_co_i32 s4, s4, 1
	s_getreg_b32 s12, hwreg(HW_REG_IB_STS2, 6, 4)
	s_mul_i32 s4, ttmp9, s4
	s_mov_b64 s[22:23], 0
	s_add_co_i32 s5, s5, s4
	s_cmp_eq_u32 s12, 0
	s_cselect_b32 s30, ttmp9, s5
	s_mov_b32 s5, 0
	s_ashr_i32 s31, s30, 31
	s_wait_kmcnt 0x0
	v_cmp_le_i64_e64 s4, s[16:17], s[30:31]
	v_cmp_gt_i64_e64 s34, s[16:17], s[30:31]
	s_mov_b64 s[16:17], 0
	s_and_b32 vcc_lo, exec_lo, s4
	s_cbranch_vccz .LBB11_6
; %bb.4:
	s_and_not1_b32 vcc_lo, exec_lo, s34
	s_cbranch_vccz .LBB11_7
.LBB11_5:
	s_load_b64 s[24:25], s[0:1], 0x50
	s_wait_kmcnt 0x0
	v_cmp_lt_i64_e64 s2, s[24:25], 1
	s_and_b32 vcc_lo, exec_lo, s2
	s_cbranch_vccz .LBB11_8
	s_branch .LBB11_56
.LBB11_6:
	s_lshl_b64 s[6:7], s[30:31], 3
	s_mov_b32 s4, s21
	s_add_nc_u64 s[6:7], s[2:3], s[6:7]
	s_load_b64 s[6:7], s[6:7], 0x0
	s_wait_kmcnt 0x0
	s_sub_nc_u64 s[22:23], s[6:7], s[4:5]
	s_and_not1_b32 vcc_lo, exec_lo, s34
	s_cbranch_vccnz .LBB11_5
.LBB11_7:
	s_lshl_b64 s[4:5], s[30:31], 3
	s_delay_alu instid0(SALU_CYCLE_1)
	s_add_nc_u64 s[2:3], s[2:3], s[4:5]
	s_mov_b32 s5, 0
	s_load_b64 s[2:3], s[2:3], 0x8
	s_mov_b32 s4, s21
	s_wait_kmcnt 0x0
	s_sub_nc_u64 s[16:17], s[2:3], s[4:5]
	s_load_b64 s[24:25], s[0:1], 0x50
	s_wait_kmcnt 0x0
	v_cmp_lt_i64_e64 s2, s[24:25], 1
	s_and_b32 vcc_lo, exec_lo, s2
	s_cbranch_vccnz .LBB11_56
.LBB11_8:
	s_clause 0x1
	s_load_b128 s[4:7], s[0:1], 0x58
	s_load_b128 s[8:11], s[0:1], 0x80
	s_bfe_u32 s2, ttmp6, 0x40010
	s_bfe_u32 s3, ttmp6, 0x40004
	s_add_co_i32 s2, s2, 1
	v_bfe_u32 v14, v0, 10, 10
	s_mul_i32 s2, ttmp7, s2
	v_and_b32_e32 v0, 0x3ff, v0
	s_add_co_i32 s3, s3, s2
	s_cmp_eq_u32 s12, 0
	v_mov_b32_e32 v11, 0
	s_cselect_b32 s2, ttmp7, s3
	s_wait_loadcnt_dscnt 0x0
	v_cmp_neq_f64_e32 vcc_lo, 0, v[6:7]
	v_lshl_add_u32 v10, s2, 5, v14
	v_cmp_neq_f64_e64 s2, 0, v[8:9]
	v_lshlrev_b32_e32 v42, 4, v0
	s_clause 0x1
	s_load_b64 s[36:37], s[0:1], 0x0
	s_load_b128 s[12:15], s[0:1], 0x40
	v_lshlrev_b64_e32 v[18:19], 4, v[10:11]
	v_dual_mov_b32 v1, v11 :: v_dual_lshlrev_b32 v24, 9, v14
	s_wait_kmcnt 0x0
	v_mul_u64_e32 v[12:13], s[6:7], v[10:11]
	v_mul_u64_e32 v[22:23], s[10:11], v[10:11]
	v_or_b32_e32 v16, 0x4000, v42
	v_cmp_gt_i64_e64 s0, s[18:19], v[10:11]
	s_mov_b64 s[38:39], 0xffffffff
	v_cmp_lt_i64_e64 s33, s[22:23], s[16:17]
	v_dual_mov_b32 v15, v11 :: v_dual_add_nc_u32 v44, v16, v24
	v_add_nc_u64_e32 v[16:17], s[8:9], v[18:19]
	v_add_nc_u64_e32 v[18:19], s[4:5], v[18:19]
	v_add_nc_u32_e32 v43, 0x4000, v24
	v_add_nc_u32_e32 v45, v42, v24
	s_mov_b32 s27, 0
	s_mul_u64 s[28:29], s[24:25], s[24:25]
	s_mov_b32 s26, s21
	s_bitcmp1_b32 s36, 0
	s_cselect_b32 s1, -1, 0
	s_and_b64 s[18:19], s[30:31], s[38:39]
	s_xor_b32 s30, s1, -1
	s_cmp_lg_u32 s37, 0
	s_mul_u64 s[18:19], s[24:25], s[18:19]
	s_cselect_b32 s31, -1, 0
	s_and_b32 s34, s34, s0
	s_or_b32 s35, vcc_lo, s2
	s_cmp_lg_u32 s20, 1
	s_mov_b64 s[2:3], 0
	s_cselect_b32 s36, -1, 0
	v_lshl_add_u64 v[20:21], v[12:13], 4, s[4:5]
	v_lshl_add_u64 v[22:23], v[22:23], 4, s[8:9]
	s_branch .LBB11_10
.LBB11_9:                               ;   in Loop: Header=BB11_10 Depth=1
	s_wait_xcnt 0x0
	s_or_b32 exec_lo, exec_lo, s1
	s_add_nc_u64 s[2:3], s[2:3], 32
	s_delay_alu instid0(SALU_CYCLE_1)
	v_cmp_lt_i64_e64 s1, s[2:3], s[24:25]
	s_and_b32 vcc_lo, exec_lo, s1
	s_cbranch_vccz .LBB11_56
.LBB11_10:                              ; =>This Loop Header: Depth=1
                                        ;     Child Loop BB11_13 Depth 2
                                        ;       Child Loop BB11_14 Depth 3
                                        ;         Child Loop BB11_36 Depth 4
	v_add_nc_u64_e32 v[26:27], s[2:3], v[0:1]
	v_mov_b64_e32 v[24:25], 0
	v_mov_b64_e32 v[32:33], 0
	s_and_not1_b32 vcc_lo, exec_lo, s33
	s_delay_alu instid0(VALU_DEP_3)
	v_cmp_gt_i64_e64 s1, s[24:25], v[26:27]
	s_cbranch_vccnz .LBB11_45
; %bb.11:                               ;   in Loop: Header=BB11_10 Depth=1
	v_mul_u64_e32 v[10:11], s[24:25], v[26:27]
	v_mov_b64_e32 v[24:25], 0
	v_mov_b64_e32 v[32:33], 0
	v_lshl_add_u64 v[28:29], v[26:27], 4, s[14:15]
	s_mov_b64 s[4:5], s[22:23]
	s_delay_alu instid0(VALU_DEP_4)
	v_lshl_add_u64 v[30:31], v[10:11], 4, s[14:15]
	s_branch .LBB11_13
.LBB11_12:                              ;   in Loop: Header=BB11_13 Depth=2
	s_add_nc_u64 s[4:5], s[4:5], 1
	s_delay_alu instid0(SALU_CYCLE_1)
	v_cmp_ge_i64_e64 s8, s[4:5], s[16:17]
	s_and_b32 vcc_lo, exec_lo, s8
	s_cbranch_vccnz .LBB11_45
.LBB11_13:                              ;   Parent Loop BB11_10 Depth=1
                                        ; =>  This Loop Header: Depth=2
                                        ;       Child Loop BB11_14 Depth 3
                                        ;         Child Loop BB11_36 Depth 4
	s_lshl_b64 s[8:9], s[4:5], 3
	s_mul_u64 s[20:21], s[28:29], s[4:5]
	s_add_nc_u64 s[8:9], s[12:13], s[8:9]
	s_lshl_b64 s[20:21], s[20:21], 4
	s_load_b64 s[8:9], s[8:9], 0x0
	v_add_nc_u64_e32 v[34:35], s[20:21], v[28:29]
	v_add_nc_u64_e32 v[36:37], s[20:21], v[30:31]
	s_mov_b64 s[20:21], 0
	s_wait_kmcnt 0x0
	s_wait_xcnt 0x0
	s_sub_nc_u64 s[8:9], s[8:9], s[26:27]
	s_delay_alu instid0(SALU_CYCLE_1) | instskip(NEXT) | instid1(SALU_CYCLE_1)
	s_mul_u64 s[8:9], s[8:9], s[24:25]
	v_lshl_add_u64 v[38:39], s[8:9], 4, v[20:21]
.LBB11_14:                              ;   Parent Loop BB11_10 Depth=1
                                        ;     Parent Loop BB11_13 Depth=2
                                        ; =>    This Loop Header: Depth=3
                                        ;         Child Loop BB11_36 Depth 4
	s_and_b32 vcc_lo, exec_lo, s30
	s_cbranch_vccz .LBB11_20
; %bb.15:                               ;   in Loop: Header=BB11_14 Depth=3
	s_mov_b32 s38, 0
	s_mov_b32 s37, 0
                                        ; implicit-def: $vgpr40_vgpr41
	s_and_saveexec_b32 s39, s0
	s_cbranch_execz .LBB11_19
; %bb.16:                               ;   in Loop: Header=BB11_14 Depth=3
	v_add_nc_u64_e32 v[10:11], s[20:21], v[0:1]
	s_mov_b32 s40, exec_lo
                                        ; implicit-def: $vgpr40_vgpr41
	s_delay_alu instid0(VALU_DEP_1)
	v_cmpx_gt_i64_e64 s[24:25], v[10:11]
	s_xor_b32 s40, exec_lo, s40
	s_cbranch_execz .LBB11_18
; %bb.17:                               ;   in Loop: Header=BB11_14 Depth=3
	v_add_nc_u64_e32 v[10:11], s[8:9], v[10:11]
	s_mov_b32 s37, exec_lo
	s_delay_alu instid0(VALU_DEP_1) | instskip(NEXT) | instid1(VALU_DEP_1)
	v_mul_u64_e32 v[10:11], s[6:7], v[10:11]
	v_lshl_add_u64 v[40:41], v[10:11], 4, v[18:19]
.LBB11_18:                              ;   in Loop: Header=BB11_14 Depth=3
	s_or_b32 exec_lo, exec_lo, s40
	s_delay_alu instid0(SALU_CYCLE_1)
	s_and_b32 s37, s37, exec_lo
.LBB11_19:                              ;   in Loop: Header=BB11_14 Depth=3
	s_or_b32 exec_lo, exec_lo, s39
	s_delay_alu instid0(SALU_CYCLE_1)
	s_and_b32 vcc_lo, exec_lo, s38
	s_cbranch_vccnz .LBB11_21
	s_branch .LBB11_26
.LBB11_20:                              ;   in Loop: Header=BB11_14 Depth=3
	s_mov_b32 s37, 0
                                        ; implicit-def: $vgpr40_vgpr41
	s_cbranch_execz .LBB11_26
.LBB11_21:                              ;   in Loop: Header=BB11_14 Depth=3
                                        ; implicit-def: $vgpr40_vgpr41
	s_and_saveexec_b32 s38, s0
	s_cbranch_execz .LBB11_25
; %bb.22:                               ;   in Loop: Header=BB11_14 Depth=3
	v_add_nc_u64_e32 v[10:11], s[20:21], v[0:1]
	s_mov_b32 s39, s37
	s_mov_b32 s40, exec_lo
                                        ; implicit-def: $vgpr40_vgpr41
	s_delay_alu instid0(VALU_DEP_1)
	v_cmpx_gt_i64_e64 s[24:25], v[10:11]
; %bb.23:                               ;   in Loop: Header=BB11_14 Depth=3
	v_lshl_add_u64 v[40:41], v[10:11], 4, v[38:39]
	s_or_b32 s39, s37, exec_lo
; %bb.24:                               ;   in Loop: Header=BB11_14 Depth=3
	s_or_b32 exec_lo, exec_lo, s40
	s_delay_alu instid0(SALU_CYCLE_1) | instskip(SKIP_1) | instid1(SALU_CYCLE_1)
	s_and_not1_b32 s37, s37, exec_lo
	s_and_b32 s39, s39, exec_lo
	s_or_b32 s37, s37, s39
.LBB11_25:                              ;   in Loop: Header=BB11_14 Depth=3
	s_or_b32 exec_lo, exec_lo, s38
.LBB11_26:                              ;   in Loop: Header=BB11_14 Depth=3
	v_mov_b64_e32 v[10:11], 0
	v_mov_b64_e32 v[12:13], 0
	s_and_saveexec_b32 s38, s37
	s_cbranch_execnz .LBB11_38
; %bb.27:                               ;   in Loop: Header=BB11_14 Depth=3
	s_or_b32 exec_lo, exec_lo, s38
	s_delay_alu instid0(SALU_CYCLE_1)
	s_and_b32 vcc_lo, exec_lo, s31
	ds_store_b128 v44, v[10:13]
	s_cbranch_vccz .LBB11_39
.LBB11_28:                              ;   in Loop: Header=BB11_14 Depth=3
	s_mov_b32 s38, 0
	s_mov_b32 s37, 0
                                        ; implicit-def: $vgpr40_vgpr41
	s_and_saveexec_b32 s39, s1
	s_cbranch_execz .LBB11_32
; %bb.29:                               ;   in Loop: Header=BB11_14 Depth=3
	v_add_nc_u64_e32 v[10:11], s[20:21], v[14:15]
	s_mov_b32 s40, exec_lo
                                        ; implicit-def: $vgpr40_vgpr41
	s_delay_alu instid0(VALU_DEP_1)
	v_cmpx_gt_i64_e64 s[24:25], v[10:11]
	s_xor_b32 s40, exec_lo, s40
	s_cbranch_execz .LBB11_31
; %bb.30:                               ;   in Loop: Header=BB11_14 Depth=3
	v_mul_u64_e32 v[10:11], s[24:25], v[10:11]
	s_mov_b32 s37, exec_lo
	s_delay_alu instid0(VALU_DEP_1)
	v_lshl_add_u64 v[40:41], v[10:11], 4, v[34:35]
.LBB11_31:                              ;   in Loop: Header=BB11_14 Depth=3
	s_or_b32 exec_lo, exec_lo, s40
	s_delay_alu instid0(SALU_CYCLE_1)
	s_and_b32 s37, s37, exec_lo
.LBB11_32:                              ;   in Loop: Header=BB11_14 Depth=3
	s_or_b32 exec_lo, exec_lo, s39
	s_delay_alu instid0(SALU_CYCLE_1)
	s_and_b32 vcc_lo, exec_lo, s38
	s_cbranch_vccnz .LBB11_40
.LBB11_33:                              ;   in Loop: Header=BB11_14 Depth=3
	v_mov_b64_e32 v[10:11], 0
	v_mov_b64_e32 v[12:13], 0
	s_and_saveexec_b32 s38, s37
	s_cbranch_execz .LBB11_35
.LBB11_34:                              ;   in Loop: Header=BB11_14 Depth=3
	global_load_b128 v[10:13], v[40:41], off
.LBB11_35:                              ;   in Loop: Header=BB11_14 Depth=3
	s_wait_xcnt 0x0
	s_or_b32 exec_lo, exec_lo, s38
	s_wait_loadcnt 0x0
	ds_store_b128 v45, v[10:13]
	v_mov_b32_e32 v10, v42
	s_mov_b32 s37, 0
	s_wait_dscnt 0x0
	s_barrier_signal -1
	s_barrier_wait -1
.LBB11_36:                              ;   Parent Loop BB11_10 Depth=1
                                        ;     Parent Loop BB11_13 Depth=2
                                        ;       Parent Loop BB11_14 Depth=3
                                        ; =>      This Inner Loop Header: Depth=4
	v_add_nc_u32_e32 v11, s37, v43
	s_addk_co_i32 s37, 0x80
	ds_load_b128 v[46:49], v10
	ds_load_b128 v[50:53], v11
	ds_load_b128 v[54:57], v10 offset:512
	ds_load_b128 v[58:61], v11 offset:16
	s_cmp_eq_u32 s37, 0x200
	s_wait_dscnt 0x2
	v_fmac_f64_e32 v[32:33], v[46:47], v[50:51]
	v_fmac_f64_e32 v[24:25], v[48:49], v[50:51]
	s_delay_alu instid0(VALU_DEP_2) | instskip(NEXT) | instid1(VALU_DEP_2)
	v_fma_f64 v[12:13], -v[48:49], v[52:53], v[32:33]
	v_fmac_f64_e32 v[24:25], v[46:47], v[52:53]
	s_wait_dscnt 0x0
	s_delay_alu instid0(VALU_DEP_2) | instskip(NEXT) | instid1(VALU_DEP_2)
	v_fmac_f64_e32 v[12:13], v[54:55], v[58:59]
	v_fmac_f64_e32 v[24:25], v[56:57], v[58:59]
	s_delay_alu instid0(VALU_DEP_2) | instskip(NEXT) | instid1(VALU_DEP_2)
	v_fma_f64 v[12:13], -v[56:57], v[60:61], v[12:13]
	v_fmac_f64_e32 v[24:25], v[54:55], v[60:61]
	ds_load_b128 v[46:49], v10 offset:1024
	ds_load_b128 v[50:53], v11 offset:32
	ds_load_b128 v[54:57], v10 offset:1536
	ds_load_b128 v[58:61], v11 offset:48
	s_wait_dscnt 0x2
	v_fmac_f64_e32 v[12:13], v[46:47], v[50:51]
	v_fmac_f64_e32 v[24:25], v[48:49], v[50:51]
	s_delay_alu instid0(VALU_DEP_2) | instskip(NEXT) | instid1(VALU_DEP_2)
	v_fma_f64 v[12:13], -v[48:49], v[52:53], v[12:13]
	v_fmac_f64_e32 v[24:25], v[46:47], v[52:53]
	s_wait_dscnt 0x0
	s_delay_alu instid0(VALU_DEP_2) | instskip(NEXT) | instid1(VALU_DEP_2)
	v_fmac_f64_e32 v[12:13], v[54:55], v[58:59]
	v_fmac_f64_e32 v[24:25], v[56:57], v[58:59]
	s_delay_alu instid0(VALU_DEP_2) | instskip(NEXT) | instid1(VALU_DEP_2)
	v_fma_f64 v[12:13], -v[56:57], v[60:61], v[12:13]
	v_fmac_f64_e32 v[24:25], v[54:55], v[60:61]
	ds_load_b128 v[46:49], v10 offset:2048
	ds_load_b128 v[50:53], v11 offset:64
	ds_load_b128 v[54:57], v10 offset:2560
	ds_load_b128 v[58:61], v11 offset:80
	;; [unrolled: 17-line block ×3, first 2 shown]
	v_add_nc_u32_e32 v10, 0x1000, v10
	s_wait_dscnt 0x2
	v_fmac_f64_e32 v[12:13], v[46:47], v[50:51]
	v_fmac_f64_e32 v[24:25], v[48:49], v[50:51]
	s_delay_alu instid0(VALU_DEP_2) | instskip(NEXT) | instid1(VALU_DEP_2)
	v_fma_f64 v[12:13], -v[48:49], v[52:53], v[12:13]
	v_fmac_f64_e32 v[24:25], v[46:47], v[52:53]
	s_wait_dscnt 0x0
	s_delay_alu instid0(VALU_DEP_2) | instskip(NEXT) | instid1(VALU_DEP_2)
	v_fmac_f64_e32 v[12:13], v[54:55], v[58:59]
	v_fmac_f64_e32 v[24:25], v[56:57], v[58:59]
	s_delay_alu instid0(VALU_DEP_2) | instskip(NEXT) | instid1(VALU_DEP_2)
	v_fma_f64 v[32:33], -v[56:57], v[60:61], v[12:13]
	v_fmac_f64_e32 v[24:25], v[54:55], v[60:61]
	s_cbranch_scc0 .LBB11_36
; %bb.37:                               ;   in Loop: Header=BB11_14 Depth=3
	s_add_nc_u64 s[20:21], s[20:21], 32
	s_delay_alu instid0(SALU_CYCLE_1)
	v_cmp_ge_i64_e64 s37, s[20:21], s[24:25]
	s_barrier_signal -1
	s_barrier_wait -1
	s_and_b32 vcc_lo, exec_lo, s37
	s_cbranch_vccz .LBB11_14
	s_branch .LBB11_12
.LBB11_38:                              ;   in Loop: Header=BB11_14 Depth=3
	global_load_b128 v[10:13], v[40:41], off
	s_wait_xcnt 0x0
	s_or_b32 exec_lo, exec_lo, s38
	s_delay_alu instid0(SALU_CYCLE_1)
	s_and_b32 vcc_lo, exec_lo, s31
	s_wait_loadcnt 0x0
	ds_store_b128 v44, v[10:13]
	s_cbranch_vccnz .LBB11_28
.LBB11_39:                              ;   in Loop: Header=BB11_14 Depth=3
	s_mov_b32 s37, 0
                                        ; implicit-def: $vgpr40_vgpr41
	s_cbranch_execz .LBB11_33
.LBB11_40:                              ;   in Loop: Header=BB11_14 Depth=3
                                        ; implicit-def: $vgpr40_vgpr41
	s_and_saveexec_b32 s38, s1
	s_cbranch_execz .LBB11_44
; %bb.41:                               ;   in Loop: Header=BB11_14 Depth=3
	v_add_nc_u64_e32 v[10:11], s[20:21], v[14:15]
	s_mov_b32 s39, s37
	s_mov_b32 s40, exec_lo
                                        ; implicit-def: $vgpr40_vgpr41
	s_delay_alu instid0(VALU_DEP_1)
	v_cmpx_gt_i64_e64 s[24:25], v[10:11]
; %bb.42:                               ;   in Loop: Header=BB11_14 Depth=3
	v_lshl_add_u64 v[40:41], v[10:11], 4, v[36:37]
	s_or_b32 s39, s37, exec_lo
; %bb.43:                               ;   in Loop: Header=BB11_14 Depth=3
	s_or_b32 exec_lo, exec_lo, s40
	s_delay_alu instid0(SALU_CYCLE_1) | instskip(SKIP_1) | instid1(SALU_CYCLE_1)
	s_and_not1_b32 s37, s37, exec_lo
	s_and_b32 s39, s39, exec_lo
	s_or_b32 s37, s37, s39
.LBB11_44:                              ;   in Loop: Header=BB11_14 Depth=3
	s_or_b32 exec_lo, exec_lo, s38
	v_mov_b64_e32 v[10:11], 0
	v_mov_b64_e32 v[12:13], 0
	s_and_saveexec_b32 s38, s37
	s_cbranch_execnz .LBB11_34
	s_branch .LBB11_35
.LBB11_45:                              ;   in Loop: Header=BB11_10 Depth=1
	v_cmp_gt_i64_e32 vcc_lo, s[24:25], v[26:27]
	s_and_b32 s4, s34, vcc_lo
	s_delay_alu instid0(SALU_CYCLE_1)
	s_and_saveexec_b32 s1, s4
	s_cbranch_execz .LBB11_9
; %bb.46:                               ;   in Loop: Header=BB11_10 Depth=1
	v_add_nc_u64_e32 v[26:27], s[18:19], v[26:27]
	s_and_saveexec_b32 s4, s35
	s_delay_alu instid0(SALU_CYCLE_1)
	s_xor_b32 s4, exec_lo, s4
	s_cbranch_execz .LBB11_51
; %bb.47:                               ;   in Loop: Header=BB11_10 Depth=1
	s_and_b32 vcc_lo, exec_lo, s36
	s_mov_b32 s5, -1
	s_cbranch_vccz .LBB11_49
; %bb.48:                               ;   in Loop: Header=BB11_10 Depth=1
	v_mul_u64_e32 v[10:11], s[10:11], v[26:27]
	v_mul_f64_e64 v[28:29], v[24:25], -v[4:5]
	v_mul_f64_e32 v[30:31], v[2:3], v[24:25]
	s_mov_b32 s5, 0
	s_delay_alu instid0(VALU_DEP_3) | instskip(NEXT) | instid1(VALU_DEP_3)
	v_lshl_add_u64 v[34:35], v[10:11], 4, v[16:17]
	v_fmac_f64_e32 v[28:29], v[2:3], v[32:33]
	s_delay_alu instid0(VALU_DEP_3) | instskip(SKIP_4) | instid1(VALU_DEP_2)
	v_fmac_f64_e32 v[30:31], v[4:5], v[32:33]
	global_load_b128 v[10:13], v[34:35], off
	s_wait_loadcnt 0x0
	v_fmac_f64_e32 v[28:29], v[6:7], v[10:11]
	v_fmac_f64_e32 v[30:31], v[8:9], v[10:11]
	v_fma_f64 v[28:29], -v[8:9], v[12:13], v[28:29]
	s_delay_alu instid0(VALU_DEP_2)
	v_fmac_f64_e32 v[30:31], v[6:7], v[12:13]
	global_store_b128 v[34:35], v[28:31], off
.LBB11_49:                              ;   in Loop: Header=BB11_10 Depth=1
	s_and_not1_b32 vcc_lo, exec_lo, s5
	s_cbranch_vccnz .LBB11_51
; %bb.50:                               ;   in Loop: Header=BB11_10 Depth=1
	s_wait_xcnt 0x0
	v_lshl_add_u64 v[28:29], v[26:27], 4, v[22:23]
	v_mul_f64_e64 v[30:31], v[24:25], -v[4:5]
	v_mul_f64_e32 v[26:27], v[2:3], v[24:25]
	global_load_b128 v[10:13], v[28:29], off
	v_fmac_f64_e32 v[30:31], v[2:3], v[32:33]
	v_fmac_f64_e32 v[26:27], v[4:5], v[32:33]
                                        ; implicit-def: $vgpr32_vgpr33
	s_wait_loadcnt 0x0
	s_delay_alu instid0(VALU_DEP_2) | instskip(NEXT) | instid1(VALU_DEP_2)
	v_fmac_f64_e32 v[30:31], v[6:7], v[10:11]
	v_fmac_f64_e32 v[26:27], v[8:9], v[10:11]
	s_delay_alu instid0(VALU_DEP_2) | instskip(NEXT) | instid1(VALU_DEP_2)
	v_fma_f64 v[24:25], -v[8:9], v[12:13], v[30:31]
	v_fmac_f64_e32 v[26:27], v[6:7], v[12:13]
	global_store_b128 v[28:29], v[24:27], off
                                        ; implicit-def: $vgpr26_vgpr27
                                        ; implicit-def: $vgpr24_vgpr25
.LBB11_51:                              ;   in Loop: Header=BB11_10 Depth=1
	s_wait_xcnt 0x0
	s_and_not1_saveexec_b32 s4, s4
	s_cbranch_execz .LBB11_9
; %bb.52:                               ;   in Loop: Header=BB11_10 Depth=1
	v_mul_f64_e64 v[10:11], v[24:25], -v[4:5]
	v_mul_f64_e32 v[12:13], v[2:3], v[24:25]
	s_and_b32 vcc_lo, exec_lo, s36
	s_mov_b32 s4, -1
	s_delay_alu instid0(VALU_DEP_2) | instskip(NEXT) | instid1(VALU_DEP_2)
	v_fmac_f64_e32 v[10:11], v[2:3], v[32:33]
	v_fmac_f64_e32 v[12:13], v[4:5], v[32:33]
	s_cbranch_vccz .LBB11_54
; %bb.53:                               ;   in Loop: Header=BB11_10 Depth=1
	v_mul_u64_e32 v[24:25], s[10:11], v[26:27]
	s_mov_b32 s4, 0
	s_delay_alu instid0(VALU_DEP_1)
	v_lshl_add_u64 v[24:25], v[24:25], 4, v[16:17]
	global_store_b128 v[24:25], v[10:13], off
.LBB11_54:                              ;   in Loop: Header=BB11_10 Depth=1
	s_and_not1_b32 vcc_lo, exec_lo, s4
	s_cbranch_vccnz .LBB11_9
; %bb.55:                               ;   in Loop: Header=BB11_10 Depth=1
	s_wait_xcnt 0x0
	v_lshl_add_u64 v[24:25], v[26:27], 4, v[22:23]
	global_store_b128 v[24:25], v[10:13], off
	s_branch .LBB11_9
.LBB11_56:
	s_endpgm
	.section	.rodata,"a",@progbits
	.p2align	6, 0x0
	.amdhsa_kernel _ZN9rocsparseL29bsrmm_general_blockdim_kernelILj32ELj32Ell21rocsparse_complex_numIdES2_S2_S2_EEvb20rocsparse_direction_T2_S4_llNS_24const_host_device_scalarIT6_EEPKT1_PKS4_PKT3_S4_PKT4_llS7_PT5_ll16rocsparse_order_21rocsparse_index_base_b
		.amdhsa_group_segment_fixed_size 32768
		.amdhsa_private_segment_fixed_size 0
		.amdhsa_kernarg_size 164
		.amdhsa_user_sgpr_count 2
		.amdhsa_user_sgpr_dispatch_ptr 0
		.amdhsa_user_sgpr_queue_ptr 0
		.amdhsa_user_sgpr_kernarg_segment_ptr 1
		.amdhsa_user_sgpr_dispatch_id 0
		.amdhsa_user_sgpr_kernarg_preload_length 0
		.amdhsa_user_sgpr_kernarg_preload_offset 0
		.amdhsa_user_sgpr_private_segment_size 0
		.amdhsa_wavefront_size32 1
		.amdhsa_uses_dynamic_stack 0
		.amdhsa_enable_private_segment 0
		.amdhsa_system_sgpr_workgroup_id_x 1
		.amdhsa_system_sgpr_workgroup_id_y 1
		.amdhsa_system_sgpr_workgroup_id_z 0
		.amdhsa_system_sgpr_workgroup_info 0
		.amdhsa_system_vgpr_workitem_id 1
		.amdhsa_next_free_vgpr 62
		.amdhsa_next_free_sgpr 41
		.amdhsa_named_barrier_count 0
		.amdhsa_reserve_vcc 1
		.amdhsa_float_round_mode_32 0
		.amdhsa_float_round_mode_16_64 0
		.amdhsa_float_denorm_mode_32 3
		.amdhsa_float_denorm_mode_16_64 3
		.amdhsa_fp16_overflow 0
		.amdhsa_memory_ordered 1
		.amdhsa_forward_progress 1
		.amdhsa_inst_pref_size 18
		.amdhsa_round_robin_scheduling 0
		.amdhsa_exception_fp_ieee_invalid_op 0
		.amdhsa_exception_fp_denorm_src 0
		.amdhsa_exception_fp_ieee_div_zero 0
		.amdhsa_exception_fp_ieee_overflow 0
		.amdhsa_exception_fp_ieee_underflow 0
		.amdhsa_exception_fp_ieee_inexact 0
		.amdhsa_exception_int_div_zero 0
	.end_amdhsa_kernel
	.section	.text._ZN9rocsparseL29bsrmm_general_blockdim_kernelILj32ELj32Ell21rocsparse_complex_numIdES2_S2_S2_EEvb20rocsparse_direction_T2_S4_llNS_24const_host_device_scalarIT6_EEPKT1_PKS4_PKT3_S4_PKT4_llS7_PT5_ll16rocsparse_order_21rocsparse_index_base_b,"axG",@progbits,_ZN9rocsparseL29bsrmm_general_blockdim_kernelILj32ELj32Ell21rocsparse_complex_numIdES2_S2_S2_EEvb20rocsparse_direction_T2_S4_llNS_24const_host_device_scalarIT6_EEPKT1_PKS4_PKT3_S4_PKT4_llS7_PT5_ll16rocsparse_order_21rocsparse_index_base_b,comdat
.Lfunc_end11:
	.size	_ZN9rocsparseL29bsrmm_general_blockdim_kernelILj32ELj32Ell21rocsparse_complex_numIdES2_S2_S2_EEvb20rocsparse_direction_T2_S4_llNS_24const_host_device_scalarIT6_EEPKT1_PKS4_PKT3_S4_PKT4_llS7_PT5_ll16rocsparse_order_21rocsparse_index_base_b, .Lfunc_end11-_ZN9rocsparseL29bsrmm_general_blockdim_kernelILj32ELj32Ell21rocsparse_complex_numIdES2_S2_S2_EEvb20rocsparse_direction_T2_S4_llNS_24const_host_device_scalarIT6_EEPKT1_PKS4_PKT3_S4_PKT4_llS7_PT5_ll16rocsparse_order_21rocsparse_index_base_b
                                        ; -- End function
	.set _ZN9rocsparseL29bsrmm_general_blockdim_kernelILj32ELj32Ell21rocsparse_complex_numIdES2_S2_S2_EEvb20rocsparse_direction_T2_S4_llNS_24const_host_device_scalarIT6_EEPKT1_PKS4_PKT3_S4_PKT4_llS7_PT5_ll16rocsparse_order_21rocsparse_index_base_b.num_vgpr, 62
	.set _ZN9rocsparseL29bsrmm_general_blockdim_kernelILj32ELj32Ell21rocsparse_complex_numIdES2_S2_S2_EEvb20rocsparse_direction_T2_S4_llNS_24const_host_device_scalarIT6_EEPKT1_PKS4_PKT3_S4_PKT4_llS7_PT5_ll16rocsparse_order_21rocsparse_index_base_b.num_agpr, 0
	.set _ZN9rocsparseL29bsrmm_general_blockdim_kernelILj32ELj32Ell21rocsparse_complex_numIdES2_S2_S2_EEvb20rocsparse_direction_T2_S4_llNS_24const_host_device_scalarIT6_EEPKT1_PKS4_PKT3_S4_PKT4_llS7_PT5_ll16rocsparse_order_21rocsparse_index_base_b.numbered_sgpr, 41
	.set _ZN9rocsparseL29bsrmm_general_blockdim_kernelILj32ELj32Ell21rocsparse_complex_numIdES2_S2_S2_EEvb20rocsparse_direction_T2_S4_llNS_24const_host_device_scalarIT6_EEPKT1_PKS4_PKT3_S4_PKT4_llS7_PT5_ll16rocsparse_order_21rocsparse_index_base_b.num_named_barrier, 0
	.set _ZN9rocsparseL29bsrmm_general_blockdim_kernelILj32ELj32Ell21rocsparse_complex_numIdES2_S2_S2_EEvb20rocsparse_direction_T2_S4_llNS_24const_host_device_scalarIT6_EEPKT1_PKS4_PKT3_S4_PKT4_llS7_PT5_ll16rocsparse_order_21rocsparse_index_base_b.private_seg_size, 0
	.set _ZN9rocsparseL29bsrmm_general_blockdim_kernelILj32ELj32Ell21rocsparse_complex_numIdES2_S2_S2_EEvb20rocsparse_direction_T2_S4_llNS_24const_host_device_scalarIT6_EEPKT1_PKS4_PKT3_S4_PKT4_llS7_PT5_ll16rocsparse_order_21rocsparse_index_base_b.uses_vcc, 1
	.set _ZN9rocsparseL29bsrmm_general_blockdim_kernelILj32ELj32Ell21rocsparse_complex_numIdES2_S2_S2_EEvb20rocsparse_direction_T2_S4_llNS_24const_host_device_scalarIT6_EEPKT1_PKS4_PKT3_S4_PKT4_llS7_PT5_ll16rocsparse_order_21rocsparse_index_base_b.uses_flat_scratch, 0
	.set _ZN9rocsparseL29bsrmm_general_blockdim_kernelILj32ELj32Ell21rocsparse_complex_numIdES2_S2_S2_EEvb20rocsparse_direction_T2_S4_llNS_24const_host_device_scalarIT6_EEPKT1_PKS4_PKT3_S4_PKT4_llS7_PT5_ll16rocsparse_order_21rocsparse_index_base_b.has_dyn_sized_stack, 0
	.set _ZN9rocsparseL29bsrmm_general_blockdim_kernelILj32ELj32Ell21rocsparse_complex_numIdES2_S2_S2_EEvb20rocsparse_direction_T2_S4_llNS_24const_host_device_scalarIT6_EEPKT1_PKS4_PKT3_S4_PKT4_llS7_PT5_ll16rocsparse_order_21rocsparse_index_base_b.has_recursion, 0
	.set _ZN9rocsparseL29bsrmm_general_blockdim_kernelILj32ELj32Ell21rocsparse_complex_numIdES2_S2_S2_EEvb20rocsparse_direction_T2_S4_llNS_24const_host_device_scalarIT6_EEPKT1_PKS4_PKT3_S4_PKT4_llS7_PT5_ll16rocsparse_order_21rocsparse_index_base_b.has_indirect_call, 0
	.section	.AMDGPU.csdata,"",@progbits
; Kernel info:
; codeLenInByte = 2216
; TotalNumSgprs: 43
; NumVgprs: 62
; ScratchSize: 0
; MemoryBound: 1
; FloatMode: 240
; IeeeMode: 1
; LDSByteSize: 32768 bytes/workgroup (compile time only)
; SGPRBlocks: 0
; VGPRBlocks: 3
; NumSGPRsForWavesPerEU: 43
; NumVGPRsForWavesPerEU: 62
; NamedBarCnt: 0
; Occupancy: 16
; WaveLimiterHint : 1
; COMPUTE_PGM_RSRC2:SCRATCH_EN: 0
; COMPUTE_PGM_RSRC2:USER_SGPR: 2
; COMPUTE_PGM_RSRC2:TRAP_HANDLER: 0
; COMPUTE_PGM_RSRC2:TGID_X_EN: 1
; COMPUTE_PGM_RSRC2:TGID_Y_EN: 1
; COMPUTE_PGM_RSRC2:TGID_Z_EN: 0
; COMPUTE_PGM_RSRC2:TIDIG_COMP_CNT: 1
	.section	.text._ZN9rocsparseL29bsrmm_general_blockdim_kernelILj32ELj32EiiDF16_DF16_ffEEvb20rocsparse_direction_T2_S2_llNS_24const_host_device_scalarIT6_EEPKT1_PKS2_PKT3_S2_PKT4_llS5_PT5_ll16rocsparse_order_21rocsparse_index_base_b,"axG",@progbits,_ZN9rocsparseL29bsrmm_general_blockdim_kernelILj32ELj32EiiDF16_DF16_ffEEvb20rocsparse_direction_T2_S2_llNS_24const_host_device_scalarIT6_EEPKT1_PKS2_PKT3_S2_PKT4_llS5_PT5_ll16rocsparse_order_21rocsparse_index_base_b,comdat
	.globl	_ZN9rocsparseL29bsrmm_general_blockdim_kernelILj32ELj32EiiDF16_DF16_ffEEvb20rocsparse_direction_T2_S2_llNS_24const_host_device_scalarIT6_EEPKT1_PKS2_PKT3_S2_PKT4_llS5_PT5_ll16rocsparse_order_21rocsparse_index_base_b ; -- Begin function _ZN9rocsparseL29bsrmm_general_blockdim_kernelILj32ELj32EiiDF16_DF16_ffEEvb20rocsparse_direction_T2_S2_llNS_24const_host_device_scalarIT6_EEPKT1_PKS2_PKT3_S2_PKT4_llS5_PT5_ll16rocsparse_order_21rocsparse_index_base_b
	.p2align	8
	.type	_ZN9rocsparseL29bsrmm_general_blockdim_kernelILj32ELj32EiiDF16_DF16_ffEEvb20rocsparse_direction_T2_S2_llNS_24const_host_device_scalarIT6_EEPKT1_PKS2_PKT3_S2_PKT4_llS5_PT5_ll16rocsparse_order_21rocsparse_index_base_b,@function
_ZN9rocsparseL29bsrmm_general_blockdim_kernelILj32ELj32EiiDF16_DF16_ffEEvb20rocsparse_direction_T2_S2_llNS_24const_host_device_scalarIT6_EEPKT1_PKS2_PKT3_S2_PKT4_llS5_PT5_ll16rocsparse_order_21rocsparse_index_base_b: ; @_ZN9rocsparseL29bsrmm_general_blockdim_kernelILj32ELj32EiiDF16_DF16_ffEEvb20rocsparse_direction_T2_S2_llNS_24const_host_device_scalarIT6_EEPKT1_PKS2_PKT3_S2_PKT4_llS5_PT5_ll16rocsparse_order_21rocsparse_index_base_b
; %bb.0:
	s_clause 0x2
	s_load_b96 s[20:22], s[0:1], 0x80
	s_load_b64 s[2:3], s[0:1], 0x20
	s_load_b64 s[24:25], s[0:1], 0x60
	s_wait_kmcnt 0x0
	s_bitcmp1_b32 s22, 0
	s_cselect_b32 s4, -1, 0
	s_delay_alu instid0(SALU_CYCLE_1)
	s_and_b32 vcc_lo, exec_lo, s4
	s_xor_b32 s4, s4, -1
	s_cbranch_vccnz .LBB12_2
; %bb.1:
	s_load_b32 s2, s[2:3], 0x0
.LBB12_2:
	s_and_not1_b32 vcc_lo, exec_lo, s4
	s_cbranch_vccnz .LBB12_4
; %bb.3:
	s_load_b32 s24, s[24:25], 0x0
.LBB12_4:
	s_wait_kmcnt 0x0
	s_cmp_eq_f32 s2, 0
	s_cselect_b32 s3, -1, 0
	s_cmp_eq_f32 s24, 1.0
	s_cselect_b32 s4, -1, 0
	s_delay_alu instid0(SALU_CYCLE_1) | instskip(NEXT) | instid1(SALU_CYCLE_1)
	s_and_b32 s3, s3, s4
	s_and_b32 vcc_lo, exec_lo, s3
	s_mov_b32 s3, 0
	s_cbranch_vccnz .LBB12_55
; %bb.5:
	s_clause 0x1
	s_load_b128 s[16:19], s[0:1], 0x0
	s_load_b64 s[4:5], s[0:1], 0x28
	s_bfe_u32 s6, ttmp6, 0x4000c
	s_and_b32 s7, ttmp6, 15
	s_add_co_i32 s6, s6, 1
	s_getreg_b32 s12, hwreg(HW_REG_IB_STS2, 6, 4)
	s_mul_i32 s6, ttmp9, s6
	s_delay_alu instid0(SALU_CYCLE_1)
	s_add_co_i32 s7, s7, s6
	s_cmp_eq_u32 s12, 0
	s_cselect_b32 s22, ttmp9, s7
	s_wait_kmcnt 0x0
	s_cmp_lt_i32 s22, s18
	s_cselect_b32 s27, -1, 0
	s_cmp_ge_i32 s22, s18
	s_cbranch_scc0 .LBB12_8
; %bb.6:
	s_and_not1_b32 vcc_lo, exec_lo, s27
	s_mov_b32 s18, 0
	s_cbranch_vccz .LBB12_9
.LBB12_7:
	s_load_b32 s23, s[0:1], 0x40
	s_wait_kmcnt 0x0
	s_cmp_lt_i32 s23, 1
	s_cbranch_scc0 .LBB12_10
	s_branch .LBB12_55
.LBB12_8:
	s_ashr_i32 s23, s22, 31
	s_delay_alu instid0(SALU_CYCLE_1) | instskip(NEXT) | instid1(SALU_CYCLE_1)
	s_lshl_b64 s[6:7], s[22:23], 2
	s_add_nc_u64 s[6:7], s[4:5], s[6:7]
	s_load_b32 s3, s[6:7], 0x0
	s_wait_kmcnt 0x0
	s_sub_co_i32 s3, s3, s21
	s_and_not1_b32 vcc_lo, exec_lo, s27
	s_mov_b32 s18, 0
	s_cbranch_vccnz .LBB12_7
.LBB12_9:
	s_ashr_i32 s23, s22, 31
	s_delay_alu instid0(SALU_CYCLE_1) | instskip(NEXT) | instid1(SALU_CYCLE_1)
	s_lshl_b64 s[6:7], s[22:23], 2
	s_add_nc_u64 s[4:5], s[4:5], s[6:7]
	s_load_b32 s4, s[4:5], 0x4
	s_wait_kmcnt 0x0
	s_sub_co_i32 s18, s4, s21
	s_load_b32 s23, s[0:1], 0x40
	s_wait_kmcnt 0x0
	s_cmp_lt_i32 s23, 1
	s_cbranch_scc1 .LBB12_55
.LBB12_10:
	s_bitcmp1_b32 s16, 0
	s_load_b128 s[4:7], s[0:1], 0x68
	s_cselect_b32 s13, -1, 0
	s_bfe_u32 s14, ttmp6, 0x40010
	s_load_b128 s[8:11], s[0:1], 0x48
	s_add_co_i32 s14, s14, 1
	s_bfe_u32 s15, ttmp6, 0x40004
	s_mul_i32 s14, ttmp7, s14
	v_bfe_u32 v10, v0, 10, 10
	s_xor_b32 s16, s13, -1
	s_add_co_i32 s15, s15, s14
	s_cmp_eq_u32 s12, 0
	v_and_b32_e32 v11, 0x3ff, v0
	s_cselect_b32 s12, ttmp7, s15
	s_cmp_lt_i32 s3, s18
	v_lshl_add_u32 v2, s12, 5, v10
	s_load_b128 s[12:15], s[0:1], 0x30
	v_mad_u32 v0, s3, s23, v11
	v_lshlrev_b32_e32 v12, 2, v11
	s_cselect_b32 s26, -1, 0
	v_ashrrev_i32_e32 v3, 31, v2
	s_wait_xcnt 0x0
	v_cmp_gt_i32_e64 s0, s19, v2
	s_cmp_lg_u32 s17, 0
	v_lshlrev_b32_e32 v13, 7, v10
	v_or_b32_e32 v1, 0x1000, v12
	s_wait_kmcnt 0x0
	v_mul_u64_e32 v[4:5], s[10:11], v[2:3]
	v_mul_u64_e32 v[6:7], s[6:7], v[2:3]
	s_cselect_b32 s17, -1, 0
	v_mad_u32 v18, s23, v0, v10
	s_and_b32 s19, s27, s0
	s_cmp_neq_f32 s24, 0
	v_dual_add_nc_u32 v14, v12, v13 :: v_dual_add_nc_u32 v17, v1, v13
	v_add_nc_u32_e32 v15, 0x400, v12
	v_add_nc_u32_e32 v16, 0x800, v12
	v_lshl_add_u64 v[0:1], v[2:3], 1, s[8:9]
	v_lshl_add_u64 v[2:3], v[2:3], 2, s[4:5]
	v_add_nc_u32_e32 v19, 0xc00, v12
	s_cselect_b32 s27, -1, 0
	s_cmp_lg_u32 s20, 1
	s_mov_b32 s25, 0
	s_mul_i32 s22, s23, s22
	s_mul_i32 s20, s23, s23
	v_lshl_add_u64 v[4:5], v[4:5], 1, s[8:9]
	v_lshl_add_u64 v[6:7], v[6:7], 2, s[4:5]
	s_cselect_b32 s8, -1, 0
	s_lshl_b32 s9, s23, 5
	s_branch .LBB12_12
.LBB12_11:                              ;   in Loop: Header=BB12_12 Depth=1
	s_wait_xcnt 0x0
	s_or_b32 exec_lo, exec_lo, s1
	v_add_nc_u32_e32 v18, s9, v18
	s_add_co_i32 s25, s25, 32
	s_delay_alu instid0(SALU_CYCLE_1)
	s_cmp_lt_i32 s25, s23
	s_cbranch_scc0 .LBB12_55
.LBB12_12:                              ; =>This Loop Header: Depth=1
                                        ;     Child Loop BB12_15 Depth 2
                                        ;       Child Loop BB12_17 Depth 3
	v_dual_add_nc_u32 v8, s25, v11 :: v_dual_mov_b32 v20, 0
	s_and_not1_b32 vcc_lo, exec_lo, s26
	s_delay_alu instid0(VALU_DEP_1)
	v_cmp_gt_i32_e64 s1, s23, v8
	s_cbranch_vccnz .LBB12_43
; %bb.13:                               ;   in Loop: Header=BB12_12 Depth=1
	v_dual_mov_b32 v20, 0 :: v_dual_mov_b32 v9, v18
	s_mov_b32 s4, s3
	s_branch .LBB12_15
.LBB12_14:                              ;   in Loop: Header=BB12_15 Depth=2
	v_add_nc_u32_e32 v9, s20, v9
	s_add_co_i32 s4, s4, 1
	s_delay_alu instid0(SALU_CYCLE_1)
	s_cmp_ge_i32 s4, s18
	s_cbranch_scc1 .LBB12_43
.LBB12_15:                              ;   Parent Loop BB12_12 Depth=1
                                        ; =>  This Loop Header: Depth=2
                                        ;       Child Loop BB12_17 Depth 3
	s_ashr_i32 s5, s4, 31
	s_delay_alu instid0(SALU_CYCLE_1) | instskip(NEXT) | instid1(SALU_CYCLE_1)
	s_lshl_b64 s[28:29], s[4:5], 2
	s_add_nc_u64 s[28:29], s[12:13], s[28:29]
	s_load_b32 s5, s[28:29], 0x0
	s_wait_xcnt 0x0
	s_mov_b32 s28, 0
	s_wait_kmcnt 0x0
	s_sub_co_i32 s5, s5, s21
	s_delay_alu instid0(SALU_CYCLE_1)
	v_mad_u32 v21, s5, s23, v11
	s_mul_i32 s5, s4, s23
	s_branch .LBB12_17
.LBB12_16:                              ;   in Loop: Header=BB12_17 Depth=3
	s_wait_xcnt 0x0
	s_or_b32 exec_lo, exec_lo, s30
	ds_store_b32 v14, v23
	s_wait_dscnt 0x0
	s_barrier_signal -1
	s_barrier_wait -1
	ds_load_2addr_b32 v[30:31], v12 offset1:32
	ds_load_b128 v[22:25], v13 offset:4096
	ds_load_2addr_b32 v[32:33], v12 offset0:64 offset1:96
	ds_load_b128 v[26:29], v13 offset:4112
	ds_load_2addr_b32 v[34:35], v12 offset0:128 offset1:160
	s_add_co_i32 s28, s28, 32
	s_delay_alu instid0(SALU_CYCLE_1) | instskip(SKIP_2) | instid1(VALU_DEP_1)
	s_cmp_ge_i32 s28, s23
	s_wait_dscnt 0x3
	v_fmac_f32_e32 v20, v30, v22
	v_fmac_f32_e32 v20, v31, v23
	ds_load_2addr_b32 v[30:31], v12 offset0:192 offset1:224
	s_wait_dscnt 0x3
	v_fmac_f32_e32 v20, v32, v24
	s_delay_alu instid0(VALU_DEP_1) | instskip(SKIP_4) | instid1(VALU_DEP_1)
	v_fmac_f32_e32 v20, v33, v25
	ds_load_b128 v[22:25], v13 offset:4128
	ds_load_2addr_b32 v[32:33], v15 offset1:32
	s_wait_dscnt 0x3
	v_fmac_f32_e32 v20, v34, v26
	v_fmac_f32_e32 v20, v35, v27
	ds_load_2addr_b32 v[34:35], v15 offset0:64 offset1:96
	s_wait_dscnt 0x3
	v_fmac_f32_e32 v20, v30, v28
	s_delay_alu instid0(VALU_DEP_1) | instskip(SKIP_4) | instid1(VALU_DEP_1)
	v_fmac_f32_e32 v20, v31, v29
	ds_load_b128 v[26:29], v13 offset:4144
	ds_load_2addr_b32 v[30:31], v15 offset0:128 offset1:160
	s_wait_dscnt 0x3
	v_fmac_f32_e32 v20, v32, v22
	v_fmac_f32_e32 v20, v33, v23
	ds_load_2addr_b32 v[32:33], v15 offset0:192 offset1:224
	s_wait_dscnt 0x3
	v_fmac_f32_e32 v20, v34, v24
	s_delay_alu instid0(VALU_DEP_1) | instskip(SKIP_4) | instid1(VALU_DEP_1)
	v_fmac_f32_e32 v20, v35, v25
	ds_load_2addr_b32 v[34:35], v16 offset1:32
	ds_load_b128 v[22:25], v13 offset:4160
	s_wait_dscnt 0x3
	v_fmac_f32_e32 v20, v30, v26
	v_fmac_f32_e32 v20, v31, v27
	ds_load_2addr_b32 v[30:31], v16 offset0:64 offset1:96
	s_wait_dscnt 0x3
	v_fmac_f32_e32 v20, v32, v28
	s_delay_alu instid0(VALU_DEP_1) | instskip(SKIP_4) | instid1(VALU_DEP_1)
	v_fmac_f32_e32 v20, v33, v29
	ds_load_2addr_b32 v[32:33], v16 offset0:128 offset1:160
	ds_load_b128 v[26:29], v13 offset:4176
	s_wait_dscnt 0x3
	v_fmac_f32_e32 v20, v34, v22
	v_fmac_f32_e32 v20, v35, v23
	ds_load_2addr_b32 v[34:35], v16 offset0:192 offset1:224
	s_wait_dscnt 0x3
	v_fmac_f32_e32 v20, v30, v24
	s_delay_alu instid0(VALU_DEP_1) | instskip(SKIP_4) | instid1(VALU_DEP_1)
	v_fmac_f32_e32 v20, v31, v25
	ds_load_2addr_b32 v[30:31], v19 offset1:32
	ds_load_b128 v[22:25], v13 offset:4192
	s_wait_dscnt 0x3
	v_fmac_f32_e32 v20, v32, v26
	v_fmac_f32_e32 v20, v33, v27
	ds_load_2addr_b32 v[32:33], v19 offset0:64 offset1:96
	s_wait_dscnt 0x3
	v_fmac_f32_e32 v20, v34, v28
	s_delay_alu instid0(VALU_DEP_1) | instskip(SKIP_4) | instid1(VALU_DEP_1)
	v_fmac_f32_e32 v20, v35, v29
	ds_load_2addr_b32 v[34:35], v19 offset0:128 offset1:160
	ds_load_b128 v[26:29], v13 offset:4208
	s_wait_dscnt 0x3
	v_fmac_f32_e32 v20, v30, v22
	v_fmac_f32_e32 v20, v31, v23
	ds_load_2addr_b32 v[22:23], v19 offset0:192 offset1:224
	s_wait_dscnt 0x0
	s_barrier_signal -1
	s_barrier_wait -1
	v_fmac_f32_e32 v20, v32, v24
	s_delay_alu instid0(VALU_DEP_1) | instskip(NEXT) | instid1(VALU_DEP_1)
	v_fmac_f32_e32 v20, v33, v25
	v_fmac_f32_e32 v20, v34, v26
	s_delay_alu instid0(VALU_DEP_1) | instskip(NEXT) | instid1(VALU_DEP_1)
	v_fmac_f32_e32 v20, v35, v27
	v_fmac_f32_e32 v20, v22, v28
	s_delay_alu instid0(VALU_DEP_1)
	v_fmac_f32_e32 v20, v23, v29
	s_cbranch_scc1 .LBB12_14
.LBB12_17:                              ;   Parent Loop BB12_12 Depth=1
                                        ;     Parent Loop BB12_15 Depth=2
                                        ; =>    This Inner Loop Header: Depth=3
	s_and_b32 vcc_lo, exec_lo, s16
	s_mov_b32 s29, -1
                                        ; implicit-def: $vgpr22
	s_cbranch_vccnz .LBB12_26
; %bb.18:                               ;   in Loop: Header=BB12_17 Depth=3
	s_and_not1_b32 vcc_lo, exec_lo, s29
	s_cbranch_vccz .LBB12_31
.LBB12_19:                              ;   in Loop: Header=BB12_17 Depth=3
	s_and_b32 vcc_lo, exec_lo, s17
	ds_store_b32 v17, v22
	s_cbranch_vccz .LBB12_36
.LBB12_20:                              ;   in Loop: Header=BB12_17 Depth=3
	s_mov_b32 s30, 0
	s_mov_b32 s29, 0
                                        ; implicit-def: $vgpr22
	s_and_saveexec_b32 s31, s1
	s_cbranch_execz .LBB12_24
; %bb.21:                               ;   in Loop: Header=BB12_17 Depth=3
	v_add_nc_u32_e32 v23, s28, v10
	s_mov_b32 s33, exec_lo
                                        ; implicit-def: $vgpr22
	s_delay_alu instid0(VALU_DEP_1)
	v_cmpx_gt_i32_e64 s23, v23
	s_xor_b32 s33, exec_lo, s33
; %bb.22:                               ;   in Loop: Header=BB12_17 Depth=3
	v_add_nc_u32_e32 v22, s5, v23
	s_mov_b32 s29, exec_lo
	s_delay_alu instid0(VALU_DEP_1)
	v_mad_u32 v22, v22, s23, v8
; %bb.23:                               ;   in Loop: Header=BB12_17 Depth=3
	s_or_b32 exec_lo, exec_lo, s33
	s_delay_alu instid0(SALU_CYCLE_1)
	s_and_b32 s29, s29, exec_lo
.LBB12_24:                              ;   in Loop: Header=BB12_17 Depth=3
	s_or_b32 exec_lo, exec_lo, s31
	s_delay_alu instid0(SALU_CYCLE_1)
	s_and_b32 vcc_lo, exec_lo, s30
	s_cbranch_vccnz .LBB12_37
.LBB12_25:                              ;   in Loop: Header=BB12_17 Depth=3
	v_mov_b32_e32 v23, 0
	s_and_saveexec_b32 s30, s29
	s_cbranch_execz .LBB12_16
	s_branch .LBB12_42
.LBB12_26:                              ;   in Loop: Header=BB12_17 Depth=3
	v_mov_b32_e32 v22, 0
	s_and_saveexec_b32 s29, s0
	s_cbranch_execz .LBB12_30
; %bb.27:                               ;   in Loop: Header=BB12_17 Depth=3
	v_add_nc_u32_e32 v22, s28, v11
	s_delay_alu instid0(VALU_DEP_1)
	v_cmp_gt_i32_e32 vcc_lo, s23, v22
	v_mov_b32_e32 v22, 0
	s_and_saveexec_b32 s30, vcc_lo
	s_cbranch_execz .LBB12_29
; %bb.28:                               ;   in Loop: Header=BB12_17 Depth=3
	v_add_nc_u32_e32 v22, s28, v21
	s_delay_alu instid0(VALU_DEP_1) | instskip(NEXT) | instid1(VALU_DEP_1)
	v_ashrrev_i32_e32 v23, 31, v22
	v_mul_u64_e32 v[22:23], s[10:11], v[22:23]
	s_delay_alu instid0(VALU_DEP_1)
	v_lshl_add_u64 v[22:23], v[22:23], 1, v[0:1]
	global_load_u16 v22, v[22:23], off
	s_wait_loadcnt 0x0
	s_wait_xcnt 0x0
	v_cvt_f32_f16_e32 v22, v22
.LBB12_29:                              ;   in Loop: Header=BB12_17 Depth=3
	s_or_b32 exec_lo, exec_lo, s30
.LBB12_30:                              ;   in Loop: Header=BB12_17 Depth=3
	s_delay_alu instid0(SALU_CYCLE_1)
	s_or_b32 exec_lo, exec_lo, s29
	s_cbranch_execnz .LBB12_19
.LBB12_31:                              ;   in Loop: Header=BB12_17 Depth=3
	v_mov_b32_e32 v22, 0
	s_and_saveexec_b32 s29, s0
	s_cbranch_execz .LBB12_35
; %bb.32:                               ;   in Loop: Header=BB12_17 Depth=3
	v_add_nc_u32_e32 v22, s28, v11
	s_delay_alu instid0(VALU_DEP_1)
	v_cmp_gt_i32_e32 vcc_lo, s23, v22
	v_mov_b32_e32 v22, 0
	s_and_saveexec_b32 s30, vcc_lo
	s_cbranch_execz .LBB12_34
; %bb.33:                               ;   in Loop: Header=BB12_17 Depth=3
	v_add_nc_u32_e32 v22, s28, v21
	s_delay_alu instid0(VALU_DEP_1) | instskip(NEXT) | instid1(VALU_DEP_1)
	v_ashrrev_i32_e32 v23, 31, v22
	v_lshl_add_u64 v[22:23], v[22:23], 1, v[4:5]
	global_load_u16 v22, v[22:23], off
	s_wait_loadcnt 0x0
	s_wait_xcnt 0x0
	v_cvt_f32_f16_e32 v22, v22
.LBB12_34:                              ;   in Loop: Header=BB12_17 Depth=3
	s_or_b32 exec_lo, exec_lo, s30
.LBB12_35:                              ;   in Loop: Header=BB12_17 Depth=3
	s_delay_alu instid0(SALU_CYCLE_1) | instskip(NEXT) | instid1(SALU_CYCLE_1)
	s_or_b32 exec_lo, exec_lo, s29
	s_and_b32 vcc_lo, exec_lo, s17
	ds_store_b32 v17, v22
	s_cbranch_vccnz .LBB12_20
.LBB12_36:                              ;   in Loop: Header=BB12_17 Depth=3
	s_mov_b32 s29, 0
                                        ; implicit-def: $vgpr22
	s_cbranch_execz .LBB12_25
.LBB12_37:                              ;   in Loop: Header=BB12_17 Depth=3
                                        ; implicit-def: $vgpr22
	s_and_saveexec_b32 s30, s1
	s_cbranch_execz .LBB12_41
; %bb.38:                               ;   in Loop: Header=BB12_17 Depth=3
	v_add_nc_u32_e32 v22, s28, v10
	s_mov_b32 s31, s29
	s_delay_alu instid0(VALU_DEP_1)
	v_cmp_gt_i32_e32 vcc_lo, s23, v22
                                        ; implicit-def: $vgpr22
	s_and_saveexec_b32 s33, vcc_lo
; %bb.39:                               ;   in Loop: Header=BB12_17 Depth=3
	v_add_nc_u32_e32 v22, s28, v9
	s_or_b32 s31, s29, exec_lo
; %bb.40:                               ;   in Loop: Header=BB12_17 Depth=3
	s_or_b32 exec_lo, exec_lo, s33
	s_delay_alu instid0(SALU_CYCLE_1) | instskip(SKIP_1) | instid1(SALU_CYCLE_1)
	s_and_not1_b32 s29, s29, exec_lo
	s_and_b32 s31, s31, exec_lo
	s_or_b32 s29, s29, s31
.LBB12_41:                              ;   in Loop: Header=BB12_17 Depth=3
	s_or_b32 exec_lo, exec_lo, s30
	v_mov_b32_e32 v23, 0
	s_and_saveexec_b32 s30, s29
	s_cbranch_execz .LBB12_16
.LBB12_42:                              ;   in Loop: Header=BB12_17 Depth=3
	global_load_u16 v22, v22, s[14:15] scale_offset
	s_wait_loadcnt 0x0
	v_cvt_f32_f16_e32 v23, v22
	s_branch .LBB12_16
.LBB12_43:                              ;   in Loop: Header=BB12_12 Depth=1
	v_cmp_gt_i32_e32 vcc_lo, s23, v8
	s_and_b32 s4, s19, vcc_lo
	s_delay_alu instid0(SALU_CYCLE_1)
	s_and_saveexec_b32 s1, s4
	s_cbranch_execz .LBB12_11
; %bb.44:                               ;   in Loop: Header=BB12_12 Depth=1
	v_add_nc_u32_e32 v8, s22, v8
	s_and_b32 vcc_lo, exec_lo, s27
	s_delay_alu instid0(VALU_DEP_1)
	v_ashrrev_i32_e32 v9, 31, v8
	s_cbranch_vccz .LBB12_50
; %bb.45:                               ;   in Loop: Header=BB12_12 Depth=1
	s_and_b32 vcc_lo, exec_lo, s8
	s_mov_b32 s4, -1
	s_cbranch_vccz .LBB12_47
; %bb.46:                               ;   in Loop: Header=BB12_12 Depth=1
	v_mul_u64_e32 v[22:23], s[6:7], v[8:9]
	v_mul_f32_e32 v24, s2, v20
	s_mov_b32 s4, 0
	s_delay_alu instid0(VALU_DEP_2)
	v_lshl_add_u64 v[22:23], v[22:23], 2, v[2:3]
	global_load_b32 v21, v[22:23], off
	s_wait_loadcnt 0x0
	v_fmac_f32_e32 v24, s24, v21
	global_store_b32 v[22:23], v24, off
.LBB12_47:                              ;   in Loop: Header=BB12_12 Depth=1
	s_and_not1_b32 vcc_lo, exec_lo, s4
	s_cbranch_vccnz .LBB12_49
; %bb.48:                               ;   in Loop: Header=BB12_12 Depth=1
	s_wait_xcnt 0x0
	v_lshl_add_u64 v[22:23], v[8:9], 2, v[6:7]
	v_mul_f32_e32 v24, s2, v20
	global_load_b32 v21, v[22:23], off
	s_wait_loadcnt 0x0
	v_fmac_f32_e32 v24, s24, v21
	global_store_b32 v[22:23], v24, off
.LBB12_49:                              ;   in Loop: Header=BB12_12 Depth=1
	s_cbranch_execnz .LBB12_11
	s_branch .LBB12_51
.LBB12_50:                              ;   in Loop: Header=BB12_12 Depth=1
.LBB12_51:                              ;   in Loop: Header=BB12_12 Depth=1
	v_mul_f32_e32 v20, s2, v20
	s_and_b32 vcc_lo, exec_lo, s8
	s_mov_b32 s4, -1
	s_cbranch_vccz .LBB12_53
; %bb.52:                               ;   in Loop: Header=BB12_12 Depth=1
	s_wait_xcnt 0x0
	v_mul_u64_e32 v[22:23], s[6:7], v[8:9]
	s_mov_b32 s4, 0
	s_delay_alu instid0(VALU_DEP_1)
	v_lshl_add_u64 v[22:23], v[22:23], 2, v[2:3]
	global_store_b32 v[22:23], v20, off
.LBB12_53:                              ;   in Loop: Header=BB12_12 Depth=1
	s_and_not1_b32 vcc_lo, exec_lo, s4
	s_cbranch_vccnz .LBB12_11
; %bb.54:                               ;   in Loop: Header=BB12_12 Depth=1
	v_lshl_add_u64 v[8:9], v[8:9], 2, v[6:7]
	global_store_b32 v[8:9], v20, off
	s_branch .LBB12_11
.LBB12_55:
	s_endpgm
	.section	.rodata,"a",@progbits
	.p2align	6, 0x0
	.amdhsa_kernel _ZN9rocsparseL29bsrmm_general_blockdim_kernelILj32ELj32EiiDF16_DF16_ffEEvb20rocsparse_direction_T2_S2_llNS_24const_host_device_scalarIT6_EEPKT1_PKS2_PKT3_S2_PKT4_llS5_PT5_ll16rocsparse_order_21rocsparse_index_base_b
		.amdhsa_group_segment_fixed_size 8192
		.amdhsa_private_segment_fixed_size 0
		.amdhsa_kernarg_size 140
		.amdhsa_user_sgpr_count 2
		.amdhsa_user_sgpr_dispatch_ptr 0
		.amdhsa_user_sgpr_queue_ptr 0
		.amdhsa_user_sgpr_kernarg_segment_ptr 1
		.amdhsa_user_sgpr_dispatch_id 0
		.amdhsa_user_sgpr_kernarg_preload_length 0
		.amdhsa_user_sgpr_kernarg_preload_offset 0
		.amdhsa_user_sgpr_private_segment_size 0
		.amdhsa_wavefront_size32 1
		.amdhsa_uses_dynamic_stack 0
		.amdhsa_enable_private_segment 0
		.amdhsa_system_sgpr_workgroup_id_x 1
		.amdhsa_system_sgpr_workgroup_id_y 1
		.amdhsa_system_sgpr_workgroup_id_z 0
		.amdhsa_system_sgpr_workgroup_info 0
		.amdhsa_system_vgpr_workitem_id 1
		.amdhsa_next_free_vgpr 36
		.amdhsa_next_free_sgpr 34
		.amdhsa_named_barrier_count 0
		.amdhsa_reserve_vcc 1
		.amdhsa_float_round_mode_32 0
		.amdhsa_float_round_mode_16_64 0
		.amdhsa_float_denorm_mode_32 3
		.amdhsa_float_denorm_mode_16_64 3
		.amdhsa_fp16_overflow 0
		.amdhsa_memory_ordered 1
		.amdhsa_forward_progress 1
		.amdhsa_inst_pref_size 16
		.amdhsa_round_robin_scheduling 0
		.amdhsa_exception_fp_ieee_invalid_op 0
		.amdhsa_exception_fp_denorm_src 0
		.amdhsa_exception_fp_ieee_div_zero 0
		.amdhsa_exception_fp_ieee_overflow 0
		.amdhsa_exception_fp_ieee_underflow 0
		.amdhsa_exception_fp_ieee_inexact 0
		.amdhsa_exception_int_div_zero 0
	.end_amdhsa_kernel
	.section	.text._ZN9rocsparseL29bsrmm_general_blockdim_kernelILj32ELj32EiiDF16_DF16_ffEEvb20rocsparse_direction_T2_S2_llNS_24const_host_device_scalarIT6_EEPKT1_PKS2_PKT3_S2_PKT4_llS5_PT5_ll16rocsparse_order_21rocsparse_index_base_b,"axG",@progbits,_ZN9rocsparseL29bsrmm_general_blockdim_kernelILj32ELj32EiiDF16_DF16_ffEEvb20rocsparse_direction_T2_S2_llNS_24const_host_device_scalarIT6_EEPKT1_PKS2_PKT3_S2_PKT4_llS5_PT5_ll16rocsparse_order_21rocsparse_index_base_b,comdat
.Lfunc_end12:
	.size	_ZN9rocsparseL29bsrmm_general_blockdim_kernelILj32ELj32EiiDF16_DF16_ffEEvb20rocsparse_direction_T2_S2_llNS_24const_host_device_scalarIT6_EEPKT1_PKS2_PKT3_S2_PKT4_llS5_PT5_ll16rocsparse_order_21rocsparse_index_base_b, .Lfunc_end12-_ZN9rocsparseL29bsrmm_general_blockdim_kernelILj32ELj32EiiDF16_DF16_ffEEvb20rocsparse_direction_T2_S2_llNS_24const_host_device_scalarIT6_EEPKT1_PKS2_PKT3_S2_PKT4_llS5_PT5_ll16rocsparse_order_21rocsparse_index_base_b
                                        ; -- End function
	.set _ZN9rocsparseL29bsrmm_general_blockdim_kernelILj32ELj32EiiDF16_DF16_ffEEvb20rocsparse_direction_T2_S2_llNS_24const_host_device_scalarIT6_EEPKT1_PKS2_PKT3_S2_PKT4_llS5_PT5_ll16rocsparse_order_21rocsparse_index_base_b.num_vgpr, 36
	.set _ZN9rocsparseL29bsrmm_general_blockdim_kernelILj32ELj32EiiDF16_DF16_ffEEvb20rocsparse_direction_T2_S2_llNS_24const_host_device_scalarIT6_EEPKT1_PKS2_PKT3_S2_PKT4_llS5_PT5_ll16rocsparse_order_21rocsparse_index_base_b.num_agpr, 0
	.set _ZN9rocsparseL29bsrmm_general_blockdim_kernelILj32ELj32EiiDF16_DF16_ffEEvb20rocsparse_direction_T2_S2_llNS_24const_host_device_scalarIT6_EEPKT1_PKS2_PKT3_S2_PKT4_llS5_PT5_ll16rocsparse_order_21rocsparse_index_base_b.numbered_sgpr, 34
	.set _ZN9rocsparseL29bsrmm_general_blockdim_kernelILj32ELj32EiiDF16_DF16_ffEEvb20rocsparse_direction_T2_S2_llNS_24const_host_device_scalarIT6_EEPKT1_PKS2_PKT3_S2_PKT4_llS5_PT5_ll16rocsparse_order_21rocsparse_index_base_b.num_named_barrier, 0
	.set _ZN9rocsparseL29bsrmm_general_blockdim_kernelILj32ELj32EiiDF16_DF16_ffEEvb20rocsparse_direction_T2_S2_llNS_24const_host_device_scalarIT6_EEPKT1_PKS2_PKT3_S2_PKT4_llS5_PT5_ll16rocsparse_order_21rocsparse_index_base_b.private_seg_size, 0
	.set _ZN9rocsparseL29bsrmm_general_blockdim_kernelILj32ELj32EiiDF16_DF16_ffEEvb20rocsparse_direction_T2_S2_llNS_24const_host_device_scalarIT6_EEPKT1_PKS2_PKT3_S2_PKT4_llS5_PT5_ll16rocsparse_order_21rocsparse_index_base_b.uses_vcc, 1
	.set _ZN9rocsparseL29bsrmm_general_blockdim_kernelILj32ELj32EiiDF16_DF16_ffEEvb20rocsparse_direction_T2_S2_llNS_24const_host_device_scalarIT6_EEPKT1_PKS2_PKT3_S2_PKT4_llS5_PT5_ll16rocsparse_order_21rocsparse_index_base_b.uses_flat_scratch, 0
	.set _ZN9rocsparseL29bsrmm_general_blockdim_kernelILj32ELj32EiiDF16_DF16_ffEEvb20rocsparse_direction_T2_S2_llNS_24const_host_device_scalarIT6_EEPKT1_PKS2_PKT3_S2_PKT4_llS5_PT5_ll16rocsparse_order_21rocsparse_index_base_b.has_dyn_sized_stack, 0
	.set _ZN9rocsparseL29bsrmm_general_blockdim_kernelILj32ELj32EiiDF16_DF16_ffEEvb20rocsparse_direction_T2_S2_llNS_24const_host_device_scalarIT6_EEPKT1_PKS2_PKT3_S2_PKT4_llS5_PT5_ll16rocsparse_order_21rocsparse_index_base_b.has_recursion, 0
	.set _ZN9rocsparseL29bsrmm_general_blockdim_kernelILj32ELj32EiiDF16_DF16_ffEEvb20rocsparse_direction_T2_S2_llNS_24const_host_device_scalarIT6_EEPKT1_PKS2_PKT3_S2_PKT4_llS5_PT5_ll16rocsparse_order_21rocsparse_index_base_b.has_indirect_call, 0
	.section	.AMDGPU.csdata,"",@progbits
; Kernel info:
; codeLenInByte = 1948
; TotalNumSgprs: 36
; NumVgprs: 36
; ScratchSize: 0
; MemoryBound: 0
; FloatMode: 240
; IeeeMode: 1
; LDSByteSize: 8192 bytes/workgroup (compile time only)
; SGPRBlocks: 0
; VGPRBlocks: 2
; NumSGPRsForWavesPerEU: 36
; NumVGPRsForWavesPerEU: 36
; NamedBarCnt: 0
; Occupancy: 16
; WaveLimiterHint : 1
; COMPUTE_PGM_RSRC2:SCRATCH_EN: 0
; COMPUTE_PGM_RSRC2:USER_SGPR: 2
; COMPUTE_PGM_RSRC2:TRAP_HANDLER: 0
; COMPUTE_PGM_RSRC2:TGID_X_EN: 1
; COMPUTE_PGM_RSRC2:TGID_Y_EN: 1
; COMPUTE_PGM_RSRC2:TGID_Z_EN: 0
; COMPUTE_PGM_RSRC2:TIDIG_COMP_CNT: 1
	.section	.text._ZN9rocsparseL29bsrmm_general_blockdim_kernelILj32ELj32EliDF16_DF16_ffEEvb20rocsparse_direction_T2_S2_llNS_24const_host_device_scalarIT6_EEPKT1_PKS2_PKT3_S2_PKT4_llS5_PT5_ll16rocsparse_order_21rocsparse_index_base_b,"axG",@progbits,_ZN9rocsparseL29bsrmm_general_blockdim_kernelILj32ELj32EliDF16_DF16_ffEEvb20rocsparse_direction_T2_S2_llNS_24const_host_device_scalarIT6_EEPKT1_PKS2_PKT3_S2_PKT4_llS5_PT5_ll16rocsparse_order_21rocsparse_index_base_b,comdat
	.globl	_ZN9rocsparseL29bsrmm_general_blockdim_kernelILj32ELj32EliDF16_DF16_ffEEvb20rocsparse_direction_T2_S2_llNS_24const_host_device_scalarIT6_EEPKT1_PKS2_PKT3_S2_PKT4_llS5_PT5_ll16rocsparse_order_21rocsparse_index_base_b ; -- Begin function _ZN9rocsparseL29bsrmm_general_blockdim_kernelILj32ELj32EliDF16_DF16_ffEEvb20rocsparse_direction_T2_S2_llNS_24const_host_device_scalarIT6_EEPKT1_PKS2_PKT3_S2_PKT4_llS5_PT5_ll16rocsparse_order_21rocsparse_index_base_b
	.p2align	8
	.type	_ZN9rocsparseL29bsrmm_general_blockdim_kernelILj32ELj32EliDF16_DF16_ffEEvb20rocsparse_direction_T2_S2_llNS_24const_host_device_scalarIT6_EEPKT1_PKS2_PKT3_S2_PKT4_llS5_PT5_ll16rocsparse_order_21rocsparse_index_base_b,@function
_ZN9rocsparseL29bsrmm_general_blockdim_kernelILj32ELj32EliDF16_DF16_ffEEvb20rocsparse_direction_T2_S2_llNS_24const_host_device_scalarIT6_EEPKT1_PKS2_PKT3_S2_PKT4_llS5_PT5_ll16rocsparse_order_21rocsparse_index_base_b: ; @_ZN9rocsparseL29bsrmm_general_blockdim_kernelILj32ELj32EliDF16_DF16_ffEEvb20rocsparse_direction_T2_S2_llNS_24const_host_device_scalarIT6_EEPKT1_PKS2_PKT3_S2_PKT4_llS5_PT5_ll16rocsparse_order_21rocsparse_index_base_b
; %bb.0:
	s_clause 0x2
	s_load_b96 s[20:22], s[0:1], 0x80
	s_load_b64 s[2:3], s[0:1], 0x20
	s_load_b64 s[24:25], s[0:1], 0x60
	s_wait_kmcnt 0x0
	s_bitcmp1_b32 s22, 0
	s_cselect_b32 s4, -1, 0
	s_delay_alu instid0(SALU_CYCLE_1)
	s_and_b32 vcc_lo, exec_lo, s4
	s_xor_b32 s4, s4, -1
	s_cbranch_vccnz .LBB13_2
; %bb.1:
	s_load_b32 s2, s[2:3], 0x0
.LBB13_2:
	s_and_not1_b32 vcc_lo, exec_lo, s4
	s_cbranch_vccnz .LBB13_4
; %bb.3:
	s_load_b32 s24, s[24:25], 0x0
.LBB13_4:
	s_wait_kmcnt 0x0
	s_cmp_eq_f32 s2, 0
	s_cselect_b32 s3, -1, 0
	s_cmp_eq_f32 s24, 1.0
	s_cselect_b32 s4, -1, 0
	s_delay_alu instid0(SALU_CYCLE_1) | instskip(NEXT) | instid1(SALU_CYCLE_1)
	s_and_b32 s3, s3, s4
	s_and_b32 vcc_lo, exec_lo, s3
	s_cbranch_vccnz .LBB13_51
; %bb.5:
	s_clause 0x1
	s_load_b128 s[16:19], s[0:1], 0x0
	s_load_b64 s[4:5], s[0:1], 0x28
	s_bfe_u32 s3, ttmp6, 0x4000c
	s_and_b32 s6, ttmp6, 15
	s_add_co_i32 s3, s3, 1
	s_getreg_b32 s12, hwreg(HW_REG_IB_STS2, 6, 4)
	s_mul_i32 s3, ttmp9, s3
	s_mov_b64 s[22:23], 0
	s_add_co_i32 s6, s6, s3
	s_cmp_eq_u32 s12, 0
	s_mov_b64 s[26:27], 0
	s_cselect_b32 s28, ttmp9, s6
	s_wait_kmcnt 0x0
	s_cmp_lt_i32 s28, s18
	s_cselect_b32 s30, -1, 0
	s_cmp_ge_i32 s28, s18
	s_cbranch_scc0 .LBB13_8
; %bb.6:
	s_and_not1_b32 vcc_lo, exec_lo, s30
	s_cbranch_vccz .LBB13_9
.LBB13_7:
	s_load_b32 s3, s[0:1], 0x40
	s_wait_kmcnt 0x0
	s_cmp_lt_i32 s3, 1
	s_cbranch_scc0 .LBB13_10
	s_branch .LBB13_51
.LBB13_8:
	s_ashr_i32 s29, s28, 31
	s_mov_b32 s9, 0
	s_lshl_b64 s[6:7], s[28:29], 3
	s_mov_b32 s8, s21
	s_add_nc_u64 s[6:7], s[4:5], s[6:7]
	s_load_b64 s[6:7], s[6:7], 0x0
	s_wait_kmcnt 0x0
	s_sub_nc_u64 s[26:27], s[6:7], s[8:9]
	s_and_not1_b32 vcc_lo, exec_lo, s30
	s_cbranch_vccnz .LBB13_7
.LBB13_9:
	s_ashr_i32 s29, s28, 31
	s_delay_alu instid0(SALU_CYCLE_1) | instskip(NEXT) | instid1(SALU_CYCLE_1)
	s_lshl_b64 s[6:7], s[28:29], 3
	s_add_nc_u64 s[4:5], s[4:5], s[6:7]
	s_mov_b32 s7, 0
	s_load_b64 s[4:5], s[4:5], 0x8
	s_mov_b32 s6, s21
	s_wait_kmcnt 0x0
	s_sub_nc_u64 s[22:23], s[4:5], s[6:7]
	s_load_b32 s3, s[0:1], 0x40
	s_wait_kmcnt 0x0
	s_cmp_lt_i32 s3, 1
	s_cbranch_scc1 .LBB13_51
.LBB13_10:
	s_bitcmp1_b32 s16, 0
	s_load_b128 s[4:7], s[0:1], 0x68
	s_cselect_b32 s13, -1, 0
	s_bfe_u32 s14, ttmp6, 0x40010
	s_load_b128 s[8:11], s[0:1], 0x48
	s_add_co_i32 s14, s14, 1
	s_bfe_u32 s15, ttmp6, 0x40004
	s_mul_i32 s14, ttmp7, s14
	v_bfe_u32 v12, v0, 10, 10
	s_xor_b32 s16, s13, -1
	s_add_co_i32 s15, s15, s14
	s_cmp_eq_u32 s12, 0
	v_and_b32_e32 v13, 0x3ff, v0
	s_cselect_b32 s12, ttmp7, s15
	s_cmp_lg_u32 s17, 0
	v_lshl_add_u32 v2, s12, 5, v12
	s_load_b128 s[12:15], s[0:1], 0x30
	v_dual_lshlrev_b32 v15, 7, v12 :: v_dual_lshlrev_b32 v14, 2, v13
	s_cselect_b32 s17, -1, 0
	s_delay_alu instid0(VALU_DEP_2)
	v_ashrrev_i32_e32 v3, 31, v2
	s_wait_xcnt 0x0
	v_cmp_gt_i32_e64 s0, s19, v2
	v_cmp_lt_i64_e64 s25, s[26:27], s[22:23]
	v_or_b32_e32 v0, 0x1000, v14
	v_add_nc_u32_e32 v16, v14, v15
	s_wait_kmcnt 0x0
	v_mul_u64_e32 v[4:5], s[10:11], v[2:3]
	v_mul_u64_e32 v[6:7], s[6:7], v[2:3]
	s_and_b32 s19, s30, s0
	s_cmp_neq_f32 s24, 0
	v_add_nc_u32_e32 v17, 0x400, v14
	v_add_nc_u32_e32 v18, 0x800, v14
	;; [unrolled: 1-line block ×3, first 2 shown]
	v_lshl_add_u64 v[0:1], v[2:3], 1, s[8:9]
	v_lshl_add_u64 v[2:3], v[2:3], 2, s[4:5]
	v_add_nc_u32_e32 v20, 0xc00, v14
	s_mov_b32 s29, 0
	s_cselect_b32 s30, -1, 0
	s_cmp_lg_u32 s20, 1
	s_mul_i32 s18, s3, s28
	s_mul_i32 s28, s3, s3
	s_cselect_b32 s20, -1, 0
	s_mov_b32 s31, s29
	v_lshl_add_u64 v[4:5], v[4:5], 1, s[8:9]
	v_lshl_add_u64 v[6:7], v[6:7], 2, s[4:5]
	s_branch .LBB13_12
.LBB13_11:                              ;   in Loop: Header=BB13_12 Depth=1
	s_wait_xcnt 0x0
	s_or_b32 exec_lo, exec_lo, s1
	s_add_co_i32 s31, s31, 32
	s_delay_alu instid0(SALU_CYCLE_1)
	s_cmp_lt_i32 s31, s3
	s_cbranch_scc0 .LBB13_51
.LBB13_12:                              ; =>This Loop Header: Depth=1
                                        ;     Child Loop BB13_15 Depth 2
                                        ;       Child Loop BB13_17 Depth 3
	v_dual_mov_b32 v21, 0 :: v_dual_add_nc_u32 v22, s31, v13
	s_and_not1_b32 vcc_lo, exec_lo, s25
	s_delay_alu instid0(VALU_DEP_1)
	v_cmp_gt_i32_e64 s1, s3, v22
	s_cbranch_vccnz .LBB13_39
; %bb.13:                               ;   in Loop: Header=BB13_12 Depth=1
	v_mul_lo_u32 v23, v22, s3
	v_mov_b32_e32 v21, 0
	s_mov_b64 s[4:5], s[26:27]
	s_branch .LBB13_15
.LBB13_14:                              ;   in Loop: Header=BB13_15 Depth=2
	s_add_nc_u64 s[4:5], s[4:5], 1
	s_delay_alu instid0(SALU_CYCLE_1)
	v_cmp_ge_i64_e64 s8, s[4:5], s[22:23]
	s_and_b32 vcc_lo, exec_lo, s8
	s_cbranch_vccnz .LBB13_39
.LBB13_15:                              ;   Parent Loop BB13_12 Depth=1
                                        ; =>  This Loop Header: Depth=2
                                        ;       Child Loop BB13_17 Depth 3
	s_lshl_b64 s[8:9], s[4:5], 2
	s_mov_b32 s33, 0
	s_add_nc_u64 s[8:9], s[12:13], s[8:9]
	s_load_b32 s8, s[8:9], 0x0
	s_wait_kmcnt 0x0
	s_wait_xcnt 0x0
	s_sub_co_i32 s8, s8, s21
	s_delay_alu instid0(SALU_CYCLE_1) | instskip(SKIP_1) | instid1(SALU_CYCLE_1)
	v_mad_u32 v24, s8, s3, v13
	s_mul_u64 s[8:9], s[4:5], s[28:29]
	s_lshl_b64 s[8:9], s[8:9], 1
	s_delay_alu instid0(SALU_CYCLE_1)
	s_add_nc_u64 s[8:9], s[14:15], s[8:9]
	s_branch .LBB13_17
.LBB13_16:                              ;   in Loop: Header=BB13_17 Depth=3
	s_or_b32 exec_lo, exec_lo, s34
	ds_store_b32 v16, v9
	s_wait_dscnt 0x0
	s_barrier_signal -1
	s_barrier_wait -1
	ds_load_2addr_b32 v[30:31], v14 offset1:32
	ds_load_b128 v[8:11], v15 offset:4096
	ds_load_2addr_b32 v[32:33], v14 offset0:64 offset1:96
	ds_load_b128 v[26:29], v15 offset:4112
	ds_load_2addr_b32 v[34:35], v14 offset0:128 offset1:160
	s_add_co_i32 s33, s33, 32
	s_delay_alu instid0(SALU_CYCLE_1) | instskip(SKIP_2) | instid1(VALU_DEP_1)
	s_cmp_ge_i32 s33, s3
	s_wait_dscnt 0x3
	v_fmac_f32_e32 v21, v30, v8
	v_fmac_f32_e32 v21, v31, v9
	ds_load_2addr_b32 v[30:31], v14 offset0:192 offset1:224
	s_wait_dscnt 0x3
	v_fmac_f32_e32 v21, v32, v10
	s_delay_alu instid0(VALU_DEP_1) | instskip(SKIP_4) | instid1(VALU_DEP_1)
	v_fmac_f32_e32 v21, v33, v11
	ds_load_b128 v[8:11], v15 offset:4128
	ds_load_2addr_b32 v[32:33], v17 offset1:32
	s_wait_dscnt 0x3
	v_fmac_f32_e32 v21, v34, v26
	v_fmac_f32_e32 v21, v35, v27
	ds_load_2addr_b32 v[34:35], v17 offset0:64 offset1:96
	s_wait_dscnt 0x3
	v_fmac_f32_e32 v21, v30, v28
	s_delay_alu instid0(VALU_DEP_1) | instskip(SKIP_4) | instid1(VALU_DEP_1)
	v_fmac_f32_e32 v21, v31, v29
	ds_load_b128 v[26:29], v15 offset:4144
	ds_load_2addr_b32 v[30:31], v17 offset0:128 offset1:160
	s_wait_dscnt 0x3
	v_fmac_f32_e32 v21, v32, v8
	v_fmac_f32_e32 v21, v33, v9
	ds_load_2addr_b32 v[32:33], v17 offset0:192 offset1:224
	s_wait_dscnt 0x3
	v_fmac_f32_e32 v21, v34, v10
	s_delay_alu instid0(VALU_DEP_1) | instskip(SKIP_4) | instid1(VALU_DEP_1)
	v_fmac_f32_e32 v21, v35, v11
	ds_load_2addr_b32 v[34:35], v18 offset1:32
	ds_load_b128 v[8:11], v15 offset:4160
	s_wait_dscnt 0x3
	v_fmac_f32_e32 v21, v30, v26
	v_fmac_f32_e32 v21, v31, v27
	ds_load_2addr_b32 v[30:31], v18 offset0:64 offset1:96
	s_wait_dscnt 0x3
	v_fmac_f32_e32 v21, v32, v28
	s_delay_alu instid0(VALU_DEP_1) | instskip(SKIP_4) | instid1(VALU_DEP_1)
	v_fmac_f32_e32 v21, v33, v29
	ds_load_2addr_b32 v[32:33], v18 offset0:128 offset1:160
	ds_load_b128 v[26:29], v15 offset:4176
	s_wait_dscnt 0x3
	v_fmac_f32_e32 v21, v34, v8
	v_fmac_f32_e32 v21, v35, v9
	ds_load_2addr_b32 v[34:35], v18 offset0:192 offset1:224
	s_wait_dscnt 0x3
	v_fmac_f32_e32 v21, v30, v10
	s_delay_alu instid0(VALU_DEP_1) | instskip(SKIP_4) | instid1(VALU_DEP_1)
	v_fmac_f32_e32 v21, v31, v11
	ds_load_2addr_b32 v[30:31], v20 offset1:32
	ds_load_b128 v[8:11], v15 offset:4192
	s_wait_dscnt 0x3
	v_fmac_f32_e32 v21, v32, v26
	v_fmac_f32_e32 v21, v33, v27
	ds_load_2addr_b32 v[32:33], v20 offset0:64 offset1:96
	s_wait_dscnt 0x3
	v_fmac_f32_e32 v21, v34, v28
	s_delay_alu instid0(VALU_DEP_1) | instskip(SKIP_4) | instid1(VALU_DEP_1)
	v_fmac_f32_e32 v21, v35, v29
	ds_load_2addr_b32 v[34:35], v20 offset0:128 offset1:160
	ds_load_b128 v[26:29], v15 offset:4208
	s_wait_dscnt 0x3
	v_fmac_f32_e32 v21, v30, v8
	v_fmac_f32_e32 v21, v31, v9
	ds_load_2addr_b32 v[8:9], v20 offset0:192 offset1:224
	s_wait_dscnt 0x0
	s_barrier_signal -1
	s_barrier_wait -1
	v_fmac_f32_e32 v21, v32, v10
	s_delay_alu instid0(VALU_DEP_1) | instskip(NEXT) | instid1(VALU_DEP_1)
	v_fmac_f32_e32 v21, v33, v11
	v_fmac_f32_e32 v21, v34, v26
	s_delay_alu instid0(VALU_DEP_1) | instskip(NEXT) | instid1(VALU_DEP_1)
	v_fmac_f32_e32 v21, v35, v27
	v_fmac_f32_e32 v21, v8, v28
	s_delay_alu instid0(VALU_DEP_1)
	v_fmac_f32_e32 v21, v9, v29
	s_cbranch_scc1 .LBB13_14
.LBB13_17:                              ;   Parent Loop BB13_12 Depth=1
                                        ;     Parent Loop BB13_15 Depth=2
                                        ; =>    This Inner Loop Header: Depth=3
	s_and_b32 vcc_lo, exec_lo, s16
	s_mov_b32 s34, -1
                                        ; implicit-def: $vgpr8
	s_cbranch_vccnz .LBB13_26
; %bb.18:                               ;   in Loop: Header=BB13_17 Depth=3
	s_and_not1_b32 vcc_lo, exec_lo, s34
	s_cbranch_vccz .LBB13_31
.LBB13_19:                              ;   in Loop: Header=BB13_17 Depth=3
	s_and_b32 vcc_lo, exec_lo, s17
	ds_store_b32 v19, v8
	s_cbranch_vccz .LBB13_36
.LBB13_20:                              ;   in Loop: Header=BB13_17 Depth=3
	s_mov_b32 s34, 0
	s_mov_b32 s35, 0
                                        ; implicit-def: $vgpr8
	s_and_saveexec_b32 s36, s1
	s_cbranch_execz .LBB13_24
; %bb.21:                               ;   in Loop: Header=BB13_17 Depth=3
	v_add_nc_u32_e32 v9, s33, v12
	s_mov_b32 s37, exec_lo
                                        ; implicit-def: $vgpr8
	s_delay_alu instid0(VALU_DEP_1)
	v_cmpx_gt_i32_e64 s3, v9
	s_xor_b32 s37, exec_lo, s37
; %bb.22:                               ;   in Loop: Header=BB13_17 Depth=3
	s_mov_b32 s35, exec_lo
	v_mul_lo_u32 v8, v9, s3
; %bb.23:                               ;   in Loop: Header=BB13_17 Depth=3
	s_or_b32 exec_lo, exec_lo, s37
	s_delay_alu instid0(SALU_CYCLE_1)
	s_and_b32 s35, s35, exec_lo
.LBB13_24:                              ;   in Loop: Header=BB13_17 Depth=3
	s_or_b32 exec_lo, exec_lo, s36
	s_delay_alu instid0(SALU_CYCLE_1)
	s_and_b32 vcc_lo, exec_lo, s34
	s_cbranch_vccz .LBB13_37
.LBB13_25:                              ;   in Loop: Header=BB13_17 Depth=3
	v_dual_add_nc_u32 v8, s33, v12 :: v_dual_mov_b32 v10, v23
	s_and_not1_b32 s35, s35, exec_lo
	s_delay_alu instid0(VALU_DEP_1) | instskip(SKIP_1) | instid1(SALU_CYCLE_1)
	v_cmp_gt_i32_e32 vcc_lo, s3, v8
	s_and_b32 s34, s1, vcc_lo
	s_and_b32 s34, s34, exec_lo
	s_delay_alu instid0(SALU_CYCLE_1)
	s_or_b32 s35, s35, s34
	v_mov_b32_e32 v9, 0
	s_and_saveexec_b32 s34, s35
	s_cbranch_execz .LBB13_16
	s_branch .LBB13_38
.LBB13_26:                              ;   in Loop: Header=BB13_17 Depth=3
	v_mov_b32_e32 v8, 0
	s_and_saveexec_b32 s34, s0
	s_cbranch_execz .LBB13_30
; %bb.27:                               ;   in Loop: Header=BB13_17 Depth=3
	v_add_nc_u32_e32 v8, s33, v13
	s_delay_alu instid0(VALU_DEP_1)
	v_cmp_gt_i32_e32 vcc_lo, s3, v8
	v_mov_b32_e32 v8, 0
	s_and_saveexec_b32 s35, vcc_lo
	s_cbranch_execz .LBB13_29
; %bb.28:                               ;   in Loop: Header=BB13_17 Depth=3
	v_add_nc_u32_e32 v8, s33, v24
	s_delay_alu instid0(VALU_DEP_1) | instskip(NEXT) | instid1(VALU_DEP_1)
	v_ashrrev_i32_e32 v9, 31, v8
	v_mul_u64_e32 v[8:9], s[10:11], v[8:9]
	s_delay_alu instid0(VALU_DEP_1)
	v_lshl_add_u64 v[8:9], v[8:9], 1, v[0:1]
	global_load_u16 v8, v[8:9], off
	s_wait_loadcnt 0x0
	s_wait_xcnt 0x0
	v_cvt_f32_f16_e32 v8, v8
.LBB13_29:                              ;   in Loop: Header=BB13_17 Depth=3
	s_or_b32 exec_lo, exec_lo, s35
.LBB13_30:                              ;   in Loop: Header=BB13_17 Depth=3
	s_delay_alu instid0(SALU_CYCLE_1)
	s_or_b32 exec_lo, exec_lo, s34
	s_cbranch_execnz .LBB13_19
.LBB13_31:                              ;   in Loop: Header=BB13_17 Depth=3
	v_mov_b32_e32 v8, 0
	s_and_saveexec_b32 s34, s0
	s_cbranch_execz .LBB13_35
; %bb.32:                               ;   in Loop: Header=BB13_17 Depth=3
	v_add_nc_u32_e32 v8, s33, v13
	s_delay_alu instid0(VALU_DEP_1)
	v_cmp_gt_i32_e32 vcc_lo, s3, v8
	v_mov_b32_e32 v8, 0
	s_and_saveexec_b32 s35, vcc_lo
	s_cbranch_execz .LBB13_34
; %bb.33:                               ;   in Loop: Header=BB13_17 Depth=3
	v_add_nc_u32_e32 v8, s33, v24
	s_delay_alu instid0(VALU_DEP_1) | instskip(NEXT) | instid1(VALU_DEP_1)
	v_ashrrev_i32_e32 v9, 31, v8
	v_lshl_add_u64 v[8:9], v[8:9], 1, v[4:5]
	global_load_u16 v8, v[8:9], off
	s_wait_loadcnt 0x0
	s_wait_xcnt 0x0
	v_cvt_f32_f16_e32 v8, v8
.LBB13_34:                              ;   in Loop: Header=BB13_17 Depth=3
	s_or_b32 exec_lo, exec_lo, s35
.LBB13_35:                              ;   in Loop: Header=BB13_17 Depth=3
	s_delay_alu instid0(SALU_CYCLE_1) | instskip(NEXT) | instid1(SALU_CYCLE_1)
	s_or_b32 exec_lo, exec_lo, s34
	s_and_b32 vcc_lo, exec_lo, s17
	ds_store_b32 v19, v8
	s_cbranch_vccnz .LBB13_20
.LBB13_36:                              ;   in Loop: Header=BB13_17 Depth=3
	s_mov_b32 s35, 0
                                        ; implicit-def: $vgpr8
	s_cbranch_execnz .LBB13_25
.LBB13_37:                              ;   in Loop: Header=BB13_17 Depth=3
	v_dual_mov_b32 v10, v22 :: v_dual_mov_b32 v9, 0
	s_and_saveexec_b32 s34, s35
	s_cbranch_execz .LBB13_16
.LBB13_38:                              ;   in Loop: Header=BB13_17 Depth=3
	s_delay_alu instid0(VALU_DEP_1) | instskip(NEXT) | instid1(VALU_DEP_1)
	v_dual_ashrrev_i32 v11, 31, v10 :: v_dual_ashrrev_i32 v9, 31, v8
	v_lshl_add_u64 v[10:11], v[10:11], 1, s[8:9]
	s_delay_alu instid0(VALU_DEP_1)
	v_lshl_add_u64 v[8:9], v[8:9], 1, v[10:11]
	global_load_u16 v8, v[8:9], off
	s_wait_loadcnt 0x0
	s_wait_xcnt 0x0
	v_cvt_f32_f16_e32 v9, v8
	s_branch .LBB13_16
.LBB13_39:                              ;   in Loop: Header=BB13_12 Depth=1
	v_cmp_gt_i32_e32 vcc_lo, s3, v22
	s_and_b32 s4, s19, vcc_lo
	s_delay_alu instid0(SALU_CYCLE_1)
	s_and_saveexec_b32 s1, s4
	s_cbranch_execz .LBB13_11
; %bb.40:                               ;   in Loop: Header=BB13_12 Depth=1
	v_add_nc_u32_e32 v8, s18, v22
	s_and_b32 vcc_lo, exec_lo, s30
	s_delay_alu instid0(VALU_DEP_1)
	v_ashrrev_i32_e32 v9, 31, v8
	s_cbranch_vccz .LBB13_46
; %bb.41:                               ;   in Loop: Header=BB13_12 Depth=1
	s_and_b32 vcc_lo, exec_lo, s20
	s_mov_b32 s4, -1
	s_cbranch_vccz .LBB13_43
; %bb.42:                               ;   in Loop: Header=BB13_12 Depth=1
	v_mul_u64_e32 v[10:11], s[6:7], v[8:9]
	v_mul_f32_e32 v23, s2, v21
	s_mov_b32 s4, 0
	s_delay_alu instid0(VALU_DEP_2)
	v_lshl_add_u64 v[10:11], v[10:11], 2, v[2:3]
	global_load_b32 v22, v[10:11], off
	s_wait_loadcnt 0x0
	v_fmac_f32_e32 v23, s24, v22
	global_store_b32 v[10:11], v23, off
.LBB13_43:                              ;   in Loop: Header=BB13_12 Depth=1
	s_and_not1_b32 vcc_lo, exec_lo, s4
	s_cbranch_vccnz .LBB13_45
; %bb.44:                               ;   in Loop: Header=BB13_12 Depth=1
	s_wait_xcnt 0x0
	v_lshl_add_u64 v[10:11], v[8:9], 2, v[6:7]
	v_mul_f32_e32 v23, s2, v21
	global_load_b32 v22, v[10:11], off
	s_wait_loadcnt 0x0
	v_fmac_f32_e32 v23, s24, v22
	global_store_b32 v[10:11], v23, off
.LBB13_45:                              ;   in Loop: Header=BB13_12 Depth=1
	s_cbranch_execnz .LBB13_11
	s_branch .LBB13_47
.LBB13_46:                              ;   in Loop: Header=BB13_12 Depth=1
.LBB13_47:                              ;   in Loop: Header=BB13_12 Depth=1
	s_wait_xcnt 0x0
	v_mul_f32_e32 v10, s2, v21
	s_and_b32 vcc_lo, exec_lo, s20
	s_mov_b32 s4, -1
	s_cbranch_vccz .LBB13_49
; %bb.48:                               ;   in Loop: Header=BB13_12 Depth=1
	v_mul_u64_e32 v[22:23], s[6:7], v[8:9]
	s_mov_b32 s4, 0
	s_delay_alu instid0(VALU_DEP_1)
	v_lshl_add_u64 v[22:23], v[22:23], 2, v[2:3]
	global_store_b32 v[22:23], v10, off
.LBB13_49:                              ;   in Loop: Header=BB13_12 Depth=1
	s_and_not1_b32 vcc_lo, exec_lo, s4
	s_cbranch_vccnz .LBB13_11
; %bb.50:                               ;   in Loop: Header=BB13_12 Depth=1
	v_lshl_add_u64 v[8:9], v[8:9], 2, v[6:7]
	global_store_b32 v[8:9], v10, off
	s_branch .LBB13_11
.LBB13_51:
	s_endpgm
	.section	.rodata,"a",@progbits
	.p2align	6, 0x0
	.amdhsa_kernel _ZN9rocsparseL29bsrmm_general_blockdim_kernelILj32ELj32EliDF16_DF16_ffEEvb20rocsparse_direction_T2_S2_llNS_24const_host_device_scalarIT6_EEPKT1_PKS2_PKT3_S2_PKT4_llS5_PT5_ll16rocsparse_order_21rocsparse_index_base_b
		.amdhsa_group_segment_fixed_size 8192
		.amdhsa_private_segment_fixed_size 0
		.amdhsa_kernarg_size 140
		.amdhsa_user_sgpr_count 2
		.amdhsa_user_sgpr_dispatch_ptr 0
		.amdhsa_user_sgpr_queue_ptr 0
		.amdhsa_user_sgpr_kernarg_segment_ptr 1
		.amdhsa_user_sgpr_dispatch_id 0
		.amdhsa_user_sgpr_kernarg_preload_length 0
		.amdhsa_user_sgpr_kernarg_preload_offset 0
		.amdhsa_user_sgpr_private_segment_size 0
		.amdhsa_wavefront_size32 1
		.amdhsa_uses_dynamic_stack 0
		.amdhsa_enable_private_segment 0
		.amdhsa_system_sgpr_workgroup_id_x 1
		.amdhsa_system_sgpr_workgroup_id_y 1
		.amdhsa_system_sgpr_workgroup_id_z 0
		.amdhsa_system_sgpr_workgroup_info 0
		.amdhsa_system_vgpr_workitem_id 1
		.amdhsa_next_free_vgpr 36
		.amdhsa_next_free_sgpr 38
		.amdhsa_named_barrier_count 0
		.amdhsa_reserve_vcc 1
		.amdhsa_float_round_mode_32 0
		.amdhsa_float_round_mode_16_64 0
		.amdhsa_float_denorm_mode_32 3
		.amdhsa_float_denorm_mode_16_64 3
		.amdhsa_fp16_overflow 0
		.amdhsa_memory_ordered 1
		.amdhsa_forward_progress 1
		.amdhsa_inst_pref_size 16
		.amdhsa_round_robin_scheduling 0
		.amdhsa_exception_fp_ieee_invalid_op 0
		.amdhsa_exception_fp_denorm_src 0
		.amdhsa_exception_fp_ieee_div_zero 0
		.amdhsa_exception_fp_ieee_overflow 0
		.amdhsa_exception_fp_ieee_underflow 0
		.amdhsa_exception_fp_ieee_inexact 0
		.amdhsa_exception_int_div_zero 0
	.end_amdhsa_kernel
	.section	.text._ZN9rocsparseL29bsrmm_general_blockdim_kernelILj32ELj32EliDF16_DF16_ffEEvb20rocsparse_direction_T2_S2_llNS_24const_host_device_scalarIT6_EEPKT1_PKS2_PKT3_S2_PKT4_llS5_PT5_ll16rocsparse_order_21rocsparse_index_base_b,"axG",@progbits,_ZN9rocsparseL29bsrmm_general_blockdim_kernelILj32ELj32EliDF16_DF16_ffEEvb20rocsparse_direction_T2_S2_llNS_24const_host_device_scalarIT6_EEPKT1_PKS2_PKT3_S2_PKT4_llS5_PT5_ll16rocsparse_order_21rocsparse_index_base_b,comdat
.Lfunc_end13:
	.size	_ZN9rocsparseL29bsrmm_general_blockdim_kernelILj32ELj32EliDF16_DF16_ffEEvb20rocsparse_direction_T2_S2_llNS_24const_host_device_scalarIT6_EEPKT1_PKS2_PKT3_S2_PKT4_llS5_PT5_ll16rocsparse_order_21rocsparse_index_base_b, .Lfunc_end13-_ZN9rocsparseL29bsrmm_general_blockdim_kernelILj32ELj32EliDF16_DF16_ffEEvb20rocsparse_direction_T2_S2_llNS_24const_host_device_scalarIT6_EEPKT1_PKS2_PKT3_S2_PKT4_llS5_PT5_ll16rocsparse_order_21rocsparse_index_base_b
                                        ; -- End function
	.set _ZN9rocsparseL29bsrmm_general_blockdim_kernelILj32ELj32EliDF16_DF16_ffEEvb20rocsparse_direction_T2_S2_llNS_24const_host_device_scalarIT6_EEPKT1_PKS2_PKT3_S2_PKT4_llS5_PT5_ll16rocsparse_order_21rocsparse_index_base_b.num_vgpr, 36
	.set _ZN9rocsparseL29bsrmm_general_blockdim_kernelILj32ELj32EliDF16_DF16_ffEEvb20rocsparse_direction_T2_S2_llNS_24const_host_device_scalarIT6_EEPKT1_PKS2_PKT3_S2_PKT4_llS5_PT5_ll16rocsparse_order_21rocsparse_index_base_b.num_agpr, 0
	.set _ZN9rocsparseL29bsrmm_general_blockdim_kernelILj32ELj32EliDF16_DF16_ffEEvb20rocsparse_direction_T2_S2_llNS_24const_host_device_scalarIT6_EEPKT1_PKS2_PKT3_S2_PKT4_llS5_PT5_ll16rocsparse_order_21rocsparse_index_base_b.numbered_sgpr, 38
	.set _ZN9rocsparseL29bsrmm_general_blockdim_kernelILj32ELj32EliDF16_DF16_ffEEvb20rocsparse_direction_T2_S2_llNS_24const_host_device_scalarIT6_EEPKT1_PKS2_PKT3_S2_PKT4_llS5_PT5_ll16rocsparse_order_21rocsparse_index_base_b.num_named_barrier, 0
	.set _ZN9rocsparseL29bsrmm_general_blockdim_kernelILj32ELj32EliDF16_DF16_ffEEvb20rocsparse_direction_T2_S2_llNS_24const_host_device_scalarIT6_EEPKT1_PKS2_PKT3_S2_PKT4_llS5_PT5_ll16rocsparse_order_21rocsparse_index_base_b.private_seg_size, 0
	.set _ZN9rocsparseL29bsrmm_general_blockdim_kernelILj32ELj32EliDF16_DF16_ffEEvb20rocsparse_direction_T2_S2_llNS_24const_host_device_scalarIT6_EEPKT1_PKS2_PKT3_S2_PKT4_llS5_PT5_ll16rocsparse_order_21rocsparse_index_base_b.uses_vcc, 1
	.set _ZN9rocsparseL29bsrmm_general_blockdim_kernelILj32ELj32EliDF16_DF16_ffEEvb20rocsparse_direction_T2_S2_llNS_24const_host_device_scalarIT6_EEPKT1_PKS2_PKT3_S2_PKT4_llS5_PT5_ll16rocsparse_order_21rocsparse_index_base_b.uses_flat_scratch, 0
	.set _ZN9rocsparseL29bsrmm_general_blockdim_kernelILj32ELj32EliDF16_DF16_ffEEvb20rocsparse_direction_T2_S2_llNS_24const_host_device_scalarIT6_EEPKT1_PKS2_PKT3_S2_PKT4_llS5_PT5_ll16rocsparse_order_21rocsparse_index_base_b.has_dyn_sized_stack, 0
	.set _ZN9rocsparseL29bsrmm_general_blockdim_kernelILj32ELj32EliDF16_DF16_ffEEvb20rocsparse_direction_T2_S2_llNS_24const_host_device_scalarIT6_EEPKT1_PKS2_PKT3_S2_PKT4_llS5_PT5_ll16rocsparse_order_21rocsparse_index_base_b.has_recursion, 0
	.set _ZN9rocsparseL29bsrmm_general_blockdim_kernelILj32ELj32EliDF16_DF16_ffEEvb20rocsparse_direction_T2_S2_llNS_24const_host_device_scalarIT6_EEPKT1_PKS2_PKT3_S2_PKT4_llS5_PT5_ll16rocsparse_order_21rocsparse_index_base_b.has_indirect_call, 0
	.section	.AMDGPU.csdata,"",@progbits
; Kernel info:
; codeLenInByte = 1956
; TotalNumSgprs: 40
; NumVgprs: 36
; ScratchSize: 0
; MemoryBound: 0
; FloatMode: 240
; IeeeMode: 1
; LDSByteSize: 8192 bytes/workgroup (compile time only)
; SGPRBlocks: 0
; VGPRBlocks: 2
; NumSGPRsForWavesPerEU: 40
; NumVGPRsForWavesPerEU: 36
; NamedBarCnt: 0
; Occupancy: 16
; WaveLimiterHint : 1
; COMPUTE_PGM_RSRC2:SCRATCH_EN: 0
; COMPUTE_PGM_RSRC2:USER_SGPR: 2
; COMPUTE_PGM_RSRC2:TRAP_HANDLER: 0
; COMPUTE_PGM_RSRC2:TGID_X_EN: 1
; COMPUTE_PGM_RSRC2:TGID_Y_EN: 1
; COMPUTE_PGM_RSRC2:TGID_Z_EN: 0
; COMPUTE_PGM_RSRC2:TIDIG_COMP_CNT: 1
	.section	.text._ZN9rocsparseL29bsrmm_general_blockdim_kernelILj32ELj32EllDF16_DF16_ffEEvb20rocsparse_direction_T2_S2_llNS_24const_host_device_scalarIT6_EEPKT1_PKS2_PKT3_S2_PKT4_llS5_PT5_ll16rocsparse_order_21rocsparse_index_base_b,"axG",@progbits,_ZN9rocsparseL29bsrmm_general_blockdim_kernelILj32ELj32EllDF16_DF16_ffEEvb20rocsparse_direction_T2_S2_llNS_24const_host_device_scalarIT6_EEPKT1_PKS2_PKT3_S2_PKT4_llS5_PT5_ll16rocsparse_order_21rocsparse_index_base_b,comdat
	.globl	_ZN9rocsparseL29bsrmm_general_blockdim_kernelILj32ELj32EllDF16_DF16_ffEEvb20rocsparse_direction_T2_S2_llNS_24const_host_device_scalarIT6_EEPKT1_PKS2_PKT3_S2_PKT4_llS5_PT5_ll16rocsparse_order_21rocsparse_index_base_b ; -- Begin function _ZN9rocsparseL29bsrmm_general_blockdim_kernelILj32ELj32EllDF16_DF16_ffEEvb20rocsparse_direction_T2_S2_llNS_24const_host_device_scalarIT6_EEPKT1_PKS2_PKT3_S2_PKT4_llS5_PT5_ll16rocsparse_order_21rocsparse_index_base_b
	.p2align	8
	.type	_ZN9rocsparseL29bsrmm_general_blockdim_kernelILj32ELj32EllDF16_DF16_ffEEvb20rocsparse_direction_T2_S2_llNS_24const_host_device_scalarIT6_EEPKT1_PKS2_PKT3_S2_PKT4_llS5_PT5_ll16rocsparse_order_21rocsparse_index_base_b,@function
_ZN9rocsparseL29bsrmm_general_blockdim_kernelILj32ELj32EllDF16_DF16_ffEEvb20rocsparse_direction_T2_S2_llNS_24const_host_device_scalarIT6_EEPKT1_PKS2_PKT3_S2_PKT4_llS5_PT5_ll16rocsparse_order_21rocsparse_index_base_b: ; @_ZN9rocsparseL29bsrmm_general_blockdim_kernelILj32ELj32EllDF16_DF16_ffEEvb20rocsparse_direction_T2_S2_llNS_24const_host_device_scalarIT6_EEPKT1_PKS2_PKT3_S2_PKT4_llS5_PT5_ll16rocsparse_order_21rocsparse_index_base_b
; %bb.0:
	s_clause 0x2
	s_load_b96 s[16:18], s[0:1], 0x88
	s_load_b64 s[20:21], s[0:1], 0x28
	s_load_b64 s[22:23], s[0:1], 0x68
	s_wait_kmcnt 0x0
	s_bitcmp1_b32 s18, 0
	s_cselect_b32 s2, -1, 0
	s_delay_alu instid0(SALU_CYCLE_1)
	s_and_b32 vcc_lo, exec_lo, s2
	s_xor_b32 s2, s2, -1
	s_cbranch_vccnz .LBB14_2
; %bb.1:
	s_load_b32 s20, s[20:21], 0x0
.LBB14_2:
	s_and_not1_b32 vcc_lo, exec_lo, s2
	s_cbranch_vccnz .LBB14_4
; %bb.3:
	s_load_b32 s22, s[22:23], 0x0
.LBB14_4:
	s_wait_kmcnt 0x0
	s_cmp_eq_f32 s20, 0
	s_cselect_b32 s2, -1, 0
	s_cmp_eq_f32 s22, 1.0
	s_cselect_b32 s3, -1, 0
	s_delay_alu instid0(SALU_CYCLE_1) | instskip(NEXT) | instid1(SALU_CYCLE_1)
	s_and_b32 s2, s2, s3
	s_and_b32 vcc_lo, exec_lo, s2
	s_cbranch_vccnz .LBB14_53
; %bb.5:
	s_clause 0x1
	s_load_b128 s[8:11], s[0:1], 0x8
	s_load_b64 s[2:3], s[0:1], 0x30
	s_bfe_u32 s4, ttmp6, 0x4000c
	s_and_b32 s5, ttmp6, 15
	s_add_co_i32 s4, s4, 1
	s_getreg_b32 s21, hwreg(HW_REG_IB_STS2, 6, 4)
	s_mul_i32 s4, ttmp9, s4
	s_mov_b64 s[18:19], 0
	s_add_co_i32 s5, s5, s4
	s_cmp_eq_u32 s21, 0
	s_mov_b64 s[24:25], 0
	s_cselect_b32 s28, ttmp9, s5
	s_delay_alu instid0(SALU_CYCLE_1)
	s_ashr_i32 s29, s28, 31
	s_wait_kmcnt 0x0
	v_cmp_le_i64_e64 s4, s[8:9], s[28:29]
	v_cmp_gt_i64_e64 s8, s[8:9], s[28:29]
	s_and_b32 vcc_lo, exec_lo, s4
	s_cbranch_vccz .LBB14_8
; %bb.6:
	s_and_not1_b32 vcc_lo, exec_lo, s8
	s_cbranch_vccz .LBB14_9
.LBB14_7:
	s_load_b64 s[26:27], s[0:1], 0x48
	s_wait_kmcnt 0x0
	v_cmp_lt_i64_e64 s2, s[26:27], 1
	s_and_b32 vcc_lo, exec_lo, s2
	s_cbranch_vccz .LBB14_10
	s_branch .LBB14_53
.LBB14_8:
	s_lshl_b64 s[4:5], s[28:29], 3
	s_mov_b32 s7, 0
	s_add_nc_u64 s[4:5], s[2:3], s[4:5]
	s_mov_b32 s6, s17
	s_load_b64 s[4:5], s[4:5], 0x0
	s_wait_kmcnt 0x0
	s_sub_nc_u64 s[24:25], s[4:5], s[6:7]
	s_and_not1_b32 vcc_lo, exec_lo, s8
	s_cbranch_vccnz .LBB14_7
.LBB14_9:
	s_lshl_b64 s[4:5], s[28:29], 3
	s_delay_alu instid0(SALU_CYCLE_1)
	s_add_nc_u64 s[2:3], s[2:3], s[4:5]
	s_mov_b32 s5, 0
	s_load_b64 s[2:3], s[2:3], 0x8
	s_mov_b32 s4, s17
	s_wait_kmcnt 0x0
	s_sub_nc_u64 s[18:19], s[2:3], s[4:5]
	s_load_b64 s[26:27], s[0:1], 0x48
	s_wait_kmcnt 0x0
	v_cmp_lt_i64_e64 s2, s[26:27], 1
	s_and_b32 vcc_lo, exec_lo, s2
	s_cbranch_vccnz .LBB14_53
.LBB14_10:
	s_load_b64 s[30:31], s[0:1], 0x0
	s_bfe_u32 s2, ttmp6, 0x40010
	s_bfe_u32 s3, ttmp6, 0x40004
	s_add_co_i32 s2, s2, 1
	v_bfe_u32 v2, v0, 10, 10
	s_mul_i32 s2, ttmp7, s2
	s_clause 0x1
	s_load_b128 s[4:7], s[0:1], 0x70
	s_load_b128 s[12:15], s[0:1], 0x50
	s_add_co_i32 s3, s3, s2
	s_cmp_eq_u32 s21, 0
	v_and_b32_e32 v0, 0x3ff, v0
	s_cselect_b32 s2, ttmp7, s3
	v_mov_b32_e32 v9, 0
	v_lshl_add_u32 v8, s2, 5, v2
	s_mov_b64 s[34:35], 0xffffffff
	v_dual_lshlrev_b32 v10, 1, v0 :: v_dual_lshlrev_b32 v30, 2, v0
	s_delay_alu instid0(VALU_DEP_3) | instskip(NEXT) | instid1(VALU_DEP_3)
	v_mov_b32_e32 v1, v9
	v_cmp_gt_i64_e64 s2, s[10:11], v[8:9]
	v_dual_mov_b32 v11, v9 :: v_dual_lshlrev_b32 v31, 7, v2
	v_mov_b32_e32 v3, v9
	s_wait_kmcnt 0x0
	s_bitcmp1_b32 s30, 0
	v_add_nc_u32_e32 v34, 0x400, v30
	s_cselect_b32 s3, -1, 0
	s_and_b64 s[34:35], s[28:29], s[34:35]
	s_xor_b32 s3, s3, -1
	s_cmp_lg_u32 s31, 0
	v_lshl_add_u64 v[4:5], v[8:9], 2, s[4:5]
	s_cselect_b32 s21, -1, 0
	s_and_b32 s23, s8, s2
	s_cmp_neq_f32 s22, 0
	v_mul_u64_e32 v[12:13], s[6:7], v[8:9]
	v_mul_u64_e32 v[14:15], s[14:15], v[8:9]
	v_lshl_add_u64 v[6:7], v[8:9], 1, s[12:13]
	v_lshlrev_b32_e32 v8, 1, v2
	s_cselect_b32 s33, -1, 0
	s_cmp_lg_u32 s16, 1
	s_mul_u64 s[8:9], s[24:25], s[26:27]
	s_cselect_b32 s40, -1, 0
	s_lshl_b64 s[8:9], s[8:9], 1
	v_add_nc_u32_e32 v32, v30, v31
	v_add_nc_u64_e32 v[16:17], s[8:9], v[10:11]
	v_add_nc_u64_e32 v[18:19], s[8:9], v[8:9]
	s_load_b128 s[8:11], s[0:1], 0x38
	s_wait_xcnt 0x0
	v_cmp_lt_i64_e64 s1, s[24:25], s[18:19]
	v_add_nc_u32_e32 v35, 0x800, v30
	v_add_nc_u32_e32 v36, 0xc00, v30
	s_mul_u64 s[36:37], s[26:27], s[26:27]
	v_mad_nc_u64_u32 v[20:21], s26, v16, v[8:9]
	v_mad_nc_u64_u32 v[22:23], s26, v18, v[10:11]
	s_mov_b32 s29, 0
	s_mov_b32 s28, s17
	s_mul_u64 s[16:17], s[26:27], s[34:35]
	s_lshl_b64 s[30:31], s[26:27], 1
	s_lshl_b64 s[34:35], s[14:15], 1
	;; [unrolled: 1-line block ×3, first 2 shown]
	s_delay_alu instid0(VALU_DEP_2) | instskip(NEXT) | instid1(VALU_DEP_2)
	v_mad_u32 v8, s27, v16, v21
	v_mad_u32 v16, s27, v18, v23
	v_or_b32_e32 v18, 0x1000, v30
	v_lshl_add_u64 v[10:11], v[14:15], 1, v[10:11]
	s_delay_alu instid0(VALU_DEP_2) | instskip(NEXT) | instid1(VALU_DEP_2)
	v_add_nc_u32_e32 v33, v18, v31
	v_add_nc_u64_e32 v[10:11], s[12:13], v[10:11]
	v_mad_u32 v21, s26, v17, v8
	v_mad_u32 v23, s26, v19, v16
	v_lshl_add_u64 v[8:9], v[12:13], 2, s[4:5]
	s_lshl_b64 s[4:5], s[26:27], 6
	s_mov_b64 s[12:13], 0
	s_wait_kmcnt 0x0
	s_delay_alu instid0(VALU_DEP_3) | instskip(NEXT) | instid1(VALU_DEP_3)
	v_add_nc_u64_e32 v[12:13], s[10:11], v[20:21]
	v_add_nc_u64_e32 v[14:15], s[10:11], v[22:23]
	s_lshl_b64 s[10:11], s[36:37], 1
	s_branch .LBB14_12
.LBB14_11:                              ;   in Loop: Header=BB14_12 Depth=1
	s_wait_xcnt 0x0
	s_or_b32 exec_lo, exec_lo, s0
	s_add_nc_u64 s[12:13], s[12:13], 32
	v_add_nc_u64_e32 v[12:13], s[4:5], v[12:13]
	v_cmp_lt_i64_e64 s0, s[12:13], s[26:27]
	v_add_nc_u64_e32 v[14:15], 64, v[14:15]
	s_and_b32 vcc_lo, exec_lo, s0
	s_cbranch_vccz .LBB14_53
.LBB14_12:                              ; =>This Loop Header: Depth=1
                                        ;     Child Loop BB14_15 Depth 2
                                        ;       Child Loop BB14_19 Depth 3
	v_add_nc_u64_e32 v[16:17], s[12:13], v[0:1]
	v_mov_b32_e32 v37, 0
	s_and_not1_b32 vcc_lo, exec_lo, s1
	s_delay_alu instid0(VALU_DEP_2)
	v_cmp_gt_i64_e64 s0, s[26:27], v[16:17]
	s_cbranch_vccnz .LBB14_41
; %bb.13:                               ;   in Loop: Header=BB14_12 Depth=1
	v_mov_b64_e32 v[18:19], v[14:15]
	v_mov_b64_e32 v[20:21], v[12:13]
	v_mov_b32_e32 v37, 0
	s_mov_b64 s[36:37], s[24:25]
	s_branch .LBB14_15
.LBB14_14:                              ;   in Loop: Header=BB14_15 Depth=2
	s_add_nc_u64 s[36:37], s[36:37], 1
	v_add_nc_u64_e32 v[20:21], s[10:11], v[20:21]
	v_cmp_ge_i64_e64 s38, s[36:37], s[18:19]
	v_add_nc_u64_e32 v[18:19], s[10:11], v[18:19]
	s_and_b32 vcc_lo, exec_lo, s38
	s_cbranch_vccnz .LBB14_41
.LBB14_15:                              ;   Parent Loop BB14_12 Depth=1
                                        ; =>  This Loop Header: Depth=2
                                        ;       Child Loop BB14_19 Depth 3
	s_lshl_b64 s[38:39], s[36:37], 3
	s_delay_alu instid0(VALU_DEP_2)
	v_mov_b64_e32 v[28:29], v[20:21]
	s_add_nc_u64 s[38:39], s[8:9], s[38:39]
	s_load_b64 s[38:39], s[38:39], 0x0
	s_wait_kmcnt 0x0
	s_wait_xcnt 0x0
	s_sub_nc_u64 s[38:39], s[38:39], s[28:29]
	s_delay_alu instid0(SALU_CYCLE_1)
	v_mad_nc_u64_u32 v[26:27], s38, s26, v[0:1]
	s_mul_i32 s41, s39, s26
	s_mul_i32 s42, s38, s27
	v_mad_nc_u64_u32 v[24:25], s30, s38, v[10:11]
	s_mul_i32 s38, s31, s38
	s_mul_i32 s39, s30, s39
	s_delay_alu instid0(VALU_DEP_2) | instskip(NEXT) | instid1(VALU_DEP_2)
	v_mad_nc_u64_u32 v[22:23], s34, v26, v[6:7]
	v_add3_u32 v25, s39, s38, v25
	s_mov_b64 s[38:39], 0
	s_delay_alu instid0(VALU_DEP_2) | instskip(SKIP_1) | instid1(VALU_DEP_1)
	v_mad_u32 v23, s35, v26, v23
	v_add3_u32 v26, s42, s41, v27
	v_mad_u32 v23, s34, v26, v23
	v_mov_b64_e32 v[26:27], v[18:19]
	s_branch .LBB14_19
.LBB14_16:                              ;   in Loop: Header=BB14_19 Depth=3
	s_wait_xcnt 0x0
	s_or_b32 exec_lo, exec_lo, s42
.LBB14_17:                              ;   in Loop: Header=BB14_19 Depth=3
	s_delay_alu instid0(SALU_CYCLE_1)
	s_or_b32 exec_lo, exec_lo, s41
.LBB14_18:                              ;   in Loop: Header=BB14_19 Depth=3
	ds_store_b32 v32, v38
	s_wait_dscnt 0x0
	s_barrier_signal -1
	s_barrier_wait -1
	ds_load_2addr_b32 v[46:47], v30 offset1:32
	ds_load_b128 v[38:41], v31 offset:4096
	ds_load_2addr_b32 v[48:49], v30 offset0:64 offset1:96
	ds_load_b128 v[42:45], v31 offset:4112
	ds_load_2addr_b32 v[50:51], v30 offset0:128 offset1:160
	s_add_nc_u64 s[38:39], s[38:39], 32
	v_add_nc_u64_e32 v[24:25], 64, v[24:25]
	v_cmp_ge_i64_e64 s41, s[38:39], s[26:27]
	v_add_nc_u64_e32 v[22:23], s[14:15], v[22:23]
	v_add_nc_u64_e32 v[28:29], 64, v[28:29]
	;; [unrolled: 1-line block ×3, first 2 shown]
	s_and_b32 vcc_lo, exec_lo, s41
	s_wait_dscnt 0x3
	v_fmac_f32_e32 v37, v46, v38
	s_delay_alu instid0(VALU_DEP_1) | instskip(SKIP_3) | instid1(VALU_DEP_1)
	v_fmac_f32_e32 v37, v47, v39
	ds_load_2addr_b32 v[46:47], v30 offset0:192 offset1:224
	s_wait_dscnt 0x3
	v_fmac_f32_e32 v37, v48, v40
	v_fmac_f32_e32 v37, v49, v41
	ds_load_b128 v[38:41], v31 offset:4128
	ds_load_2addr_b32 v[48:49], v34 offset1:32
	s_wait_dscnt 0x3
	v_fmac_f32_e32 v37, v50, v42
	s_delay_alu instid0(VALU_DEP_1) | instskip(SKIP_3) | instid1(VALU_DEP_1)
	v_fmac_f32_e32 v37, v51, v43
	ds_load_2addr_b32 v[50:51], v34 offset0:64 offset1:96
	s_wait_dscnt 0x3
	v_fmac_f32_e32 v37, v46, v44
	v_fmac_f32_e32 v37, v47, v45
	ds_load_b128 v[42:45], v31 offset:4144
	ds_load_2addr_b32 v[46:47], v34 offset0:128 offset1:160
	s_wait_dscnt 0x3
	v_fmac_f32_e32 v37, v48, v38
	s_delay_alu instid0(VALU_DEP_1) | instskip(SKIP_3) | instid1(VALU_DEP_1)
	v_fmac_f32_e32 v37, v49, v39
	ds_load_2addr_b32 v[48:49], v34 offset0:192 offset1:224
	s_wait_dscnt 0x3
	v_fmac_f32_e32 v37, v50, v40
	v_fmac_f32_e32 v37, v51, v41
	ds_load_2addr_b32 v[50:51], v35 offset1:32
	ds_load_b128 v[38:41], v31 offset:4160
	s_wait_dscnt 0x3
	v_fmac_f32_e32 v37, v46, v42
	s_delay_alu instid0(VALU_DEP_1) | instskip(SKIP_3) | instid1(VALU_DEP_1)
	v_fmac_f32_e32 v37, v47, v43
	ds_load_2addr_b32 v[46:47], v35 offset0:64 offset1:96
	s_wait_dscnt 0x3
	v_fmac_f32_e32 v37, v48, v44
	v_fmac_f32_e32 v37, v49, v45
	ds_load_2addr_b32 v[48:49], v35 offset0:128 offset1:160
	ds_load_b128 v[42:45], v31 offset:4176
	s_wait_dscnt 0x3
	v_fmac_f32_e32 v37, v50, v38
	s_delay_alu instid0(VALU_DEP_1) | instskip(SKIP_3) | instid1(VALU_DEP_1)
	v_fmac_f32_e32 v37, v51, v39
	ds_load_2addr_b32 v[50:51], v35 offset0:192 offset1:224
	s_wait_dscnt 0x3
	v_fmac_f32_e32 v37, v46, v40
	v_fmac_f32_e32 v37, v47, v41
	ds_load_2addr_b32 v[46:47], v36 offset1:32
	ds_load_b128 v[38:41], v31 offset:4192
	s_wait_dscnt 0x3
	v_fmac_f32_e32 v37, v48, v42
	s_delay_alu instid0(VALU_DEP_1) | instskip(SKIP_3) | instid1(VALU_DEP_1)
	v_fmac_f32_e32 v37, v49, v43
	ds_load_2addr_b32 v[48:49], v36 offset0:64 offset1:96
	s_wait_dscnt 0x3
	v_fmac_f32_e32 v37, v50, v44
	v_fmac_f32_e32 v37, v51, v45
	ds_load_2addr_b32 v[50:51], v36 offset0:128 offset1:160
	ds_load_b128 v[42:45], v31 offset:4208
	s_wait_dscnt 0x3
	v_fmac_f32_e32 v37, v46, v38
	s_delay_alu instid0(VALU_DEP_1)
	v_fmac_f32_e32 v37, v47, v39
	ds_load_2addr_b32 v[38:39], v36 offset0:192 offset1:224
	s_wait_dscnt 0x0
	s_barrier_signal -1
	s_barrier_wait -1
	v_fmac_f32_e32 v37, v48, v40
	s_delay_alu instid0(VALU_DEP_1) | instskip(NEXT) | instid1(VALU_DEP_1)
	v_fmac_f32_e32 v37, v49, v41
	v_fmac_f32_e32 v37, v50, v42
	s_delay_alu instid0(VALU_DEP_1) | instskip(NEXT) | instid1(VALU_DEP_1)
	v_fmac_f32_e32 v37, v51, v43
	v_fmac_f32_e32 v37, v38, v44
	s_delay_alu instid0(VALU_DEP_1)
	v_fmac_f32_e32 v37, v39, v45
	s_cbranch_vccnz .LBB14_14
.LBB14_19:                              ;   Parent Loop BB14_12 Depth=1
                                        ;     Parent Loop BB14_15 Depth=2
                                        ; =>    This Inner Loop Header: Depth=3
	s_and_b32 vcc_lo, exec_lo, s3
	s_mov_b32 s41, -1
                                        ; implicit-def: $vgpr38
	s_cbranch_vccnz .LBB14_27
; %bb.20:                               ;   in Loop: Header=BB14_19 Depth=3
	s_and_not1_b32 vcc_lo, exec_lo, s41
	s_cbranch_vccz .LBB14_32
.LBB14_21:                              ;   in Loop: Header=BB14_19 Depth=3
	s_and_b32 vcc_lo, exec_lo, s21
	ds_store_b32 v33, v38
	s_cbranch_vccz .LBB14_37
.LBB14_22:                              ;   in Loop: Header=BB14_19 Depth=3
	v_mov_b32_e32 v38, 0
	s_and_saveexec_b32 s41, s0
	s_cbranch_execz .LBB14_26
; %bb.23:                               ;   in Loop: Header=BB14_19 Depth=3
	v_add_nc_u64_e32 v[38:39], s[38:39], v[2:3]
	s_delay_alu instid0(VALU_DEP_1)
	v_cmp_gt_i64_e32 vcc_lo, s[26:27], v[38:39]
	v_mov_b32_e32 v38, 0
	s_and_saveexec_b32 s42, vcc_lo
	s_cbranch_execz .LBB14_25
; %bb.24:                               ;   in Loop: Header=BB14_19 Depth=3
	global_load_u16 v38, v[26:27], off
	s_wait_loadcnt 0x0
	v_cvt_f32_f16_e32 v38, v38
.LBB14_25:                              ;   in Loop: Header=BB14_19 Depth=3
	s_wait_xcnt 0x0
	s_or_b32 exec_lo, exec_lo, s42
.LBB14_26:                              ;   in Loop: Header=BB14_19 Depth=3
	s_delay_alu instid0(SALU_CYCLE_1)
	s_or_b32 exec_lo, exec_lo, s41
	s_cbranch_execnz .LBB14_18
	s_branch .LBB14_38
.LBB14_27:                              ;   in Loop: Header=BB14_19 Depth=3
	v_mov_b32_e32 v38, 0
	s_and_saveexec_b32 s41, s2
	s_cbranch_execz .LBB14_31
; %bb.28:                               ;   in Loop: Header=BB14_19 Depth=3
	v_add_nc_u64_e32 v[38:39], s[38:39], v[0:1]
	s_delay_alu instid0(VALU_DEP_1)
	v_cmp_gt_i64_e32 vcc_lo, s[26:27], v[38:39]
	v_mov_b32_e32 v38, 0
	s_and_saveexec_b32 s42, vcc_lo
	s_cbranch_execz .LBB14_30
; %bb.29:                               ;   in Loop: Header=BB14_19 Depth=3
	global_load_u16 v38, v[22:23], off
	s_wait_loadcnt 0x0
	v_cvt_f32_f16_e32 v38, v38
.LBB14_30:                              ;   in Loop: Header=BB14_19 Depth=3
	s_wait_xcnt 0x0
	s_or_b32 exec_lo, exec_lo, s42
.LBB14_31:                              ;   in Loop: Header=BB14_19 Depth=3
	s_delay_alu instid0(SALU_CYCLE_1)
	s_or_b32 exec_lo, exec_lo, s41
	s_cbranch_execnz .LBB14_21
.LBB14_32:                              ;   in Loop: Header=BB14_19 Depth=3
	v_mov_b32_e32 v38, 0
	s_and_saveexec_b32 s41, s2
	s_cbranch_execz .LBB14_36
; %bb.33:                               ;   in Loop: Header=BB14_19 Depth=3
	v_add_nc_u64_e32 v[38:39], s[38:39], v[0:1]
	s_delay_alu instid0(VALU_DEP_1)
	v_cmp_gt_i64_e32 vcc_lo, s[26:27], v[38:39]
	v_mov_b32_e32 v38, 0
	s_and_saveexec_b32 s42, vcc_lo
	s_cbranch_execz .LBB14_35
; %bb.34:                               ;   in Loop: Header=BB14_19 Depth=3
	global_load_u16 v38, v[24:25], off
	s_wait_loadcnt 0x0
	v_cvt_f32_f16_e32 v38, v38
.LBB14_35:                              ;   in Loop: Header=BB14_19 Depth=3
	s_wait_xcnt 0x0
	s_or_b32 exec_lo, exec_lo, s42
.LBB14_36:                              ;   in Loop: Header=BB14_19 Depth=3
	s_delay_alu instid0(SALU_CYCLE_1) | instskip(NEXT) | instid1(SALU_CYCLE_1)
	s_or_b32 exec_lo, exec_lo, s41
	s_and_b32 vcc_lo, exec_lo, s21
	ds_store_b32 v33, v38
	s_cbranch_vccnz .LBB14_22
.LBB14_37:                              ;   in Loop: Header=BB14_19 Depth=3
                                        ; implicit-def: $vgpr38
.LBB14_38:                              ;   in Loop: Header=BB14_19 Depth=3
	v_mov_b32_e32 v38, 0
	s_and_saveexec_b32 s41, s0
	s_cbranch_execz .LBB14_17
; %bb.39:                               ;   in Loop: Header=BB14_19 Depth=3
	v_add_nc_u64_e32 v[38:39], s[38:39], v[2:3]
	s_delay_alu instid0(VALU_DEP_1)
	v_cmp_gt_i64_e32 vcc_lo, s[26:27], v[38:39]
	v_mov_b32_e32 v38, 0
	s_and_saveexec_b32 s42, vcc_lo
	s_cbranch_execz .LBB14_16
; %bb.40:                               ;   in Loop: Header=BB14_19 Depth=3
	global_load_u16 v38, v[28:29], off
	s_wait_loadcnt 0x0
	v_cvt_f32_f16_e32 v38, v38
	s_branch .LBB14_16
.LBB14_41:                              ;   in Loop: Header=BB14_12 Depth=1
	v_cmp_gt_i64_e32 vcc_lo, s[26:27], v[16:17]
	s_and_b32 s36, s23, vcc_lo
	s_delay_alu instid0(SALU_CYCLE_1)
	s_and_saveexec_b32 s0, s36
	s_cbranch_execz .LBB14_11
; %bb.42:                               ;   in Loop: Header=BB14_12 Depth=1
	v_add_nc_u64_e32 v[16:17], s[16:17], v[16:17]
	s_and_b32 vcc_lo, exec_lo, s33
	s_cbranch_vccz .LBB14_48
; %bb.43:                               ;   in Loop: Header=BB14_12 Depth=1
	s_and_b32 vcc_lo, exec_lo, s40
	s_mov_b32 s36, -1
	s_cbranch_vccz .LBB14_45
; %bb.44:                               ;   in Loop: Header=BB14_12 Depth=1
	s_delay_alu instid0(VALU_DEP_1) | instskip(SKIP_2) | instid1(VALU_DEP_2)
	v_mul_u64_e32 v[18:19], s[6:7], v[16:17]
	v_mul_f32_e32 v21, s20, v37
	s_mov_b32 s36, 0
	v_lshl_add_u64 v[18:19], v[18:19], 2, v[4:5]
	global_load_b32 v20, v[18:19], off
	s_wait_loadcnt 0x0
	v_fmac_f32_e32 v21, s22, v20
	global_store_b32 v[18:19], v21, off
.LBB14_45:                              ;   in Loop: Header=BB14_12 Depth=1
	s_and_not1_b32 vcc_lo, exec_lo, s36
	s_cbranch_vccnz .LBB14_47
; %bb.46:                               ;   in Loop: Header=BB14_12 Depth=1
	s_wait_xcnt 0x0
	v_lshl_add_u64 v[18:19], v[16:17], 2, v[8:9]
	v_mul_f32_e32 v21, s20, v37
	global_load_b32 v20, v[18:19], off
	s_wait_loadcnt 0x0
	v_fmac_f32_e32 v21, s22, v20
	global_store_b32 v[18:19], v21, off
.LBB14_47:                              ;   in Loop: Header=BB14_12 Depth=1
	s_cbranch_execnz .LBB14_11
	s_branch .LBB14_49
.LBB14_48:                              ;   in Loop: Header=BB14_12 Depth=1
.LBB14_49:                              ;   in Loop: Header=BB14_12 Depth=1
	s_wait_xcnt 0x0
	v_mul_f32_e32 v18, s20, v37
	s_and_b32 vcc_lo, exec_lo, s40
	s_mov_b32 s36, -1
	s_cbranch_vccz .LBB14_51
; %bb.50:                               ;   in Loop: Header=BB14_12 Depth=1
	v_mul_u64_e32 v[20:21], s[6:7], v[16:17]
	s_mov_b32 s36, 0
	s_delay_alu instid0(VALU_DEP_1)
	v_lshl_add_u64 v[20:21], v[20:21], 2, v[4:5]
	global_store_b32 v[20:21], v18, off
.LBB14_51:                              ;   in Loop: Header=BB14_12 Depth=1
	s_and_not1_b32 vcc_lo, exec_lo, s36
	s_cbranch_vccnz .LBB14_11
; %bb.52:                               ;   in Loop: Header=BB14_12 Depth=1
	v_lshl_add_u64 v[16:17], v[16:17], 2, v[8:9]
	global_store_b32 v[16:17], v18, off
	s_branch .LBB14_11
.LBB14_53:
	s_endpgm
	.section	.rodata,"a",@progbits
	.p2align	6, 0x0
	.amdhsa_kernel _ZN9rocsparseL29bsrmm_general_blockdim_kernelILj32ELj32EllDF16_DF16_ffEEvb20rocsparse_direction_T2_S2_llNS_24const_host_device_scalarIT6_EEPKT1_PKS2_PKT3_S2_PKT4_llS5_PT5_ll16rocsparse_order_21rocsparse_index_base_b
		.amdhsa_group_segment_fixed_size 8192
		.amdhsa_private_segment_fixed_size 0
		.amdhsa_kernarg_size 148
		.amdhsa_user_sgpr_count 2
		.amdhsa_user_sgpr_dispatch_ptr 0
		.amdhsa_user_sgpr_queue_ptr 0
		.amdhsa_user_sgpr_kernarg_segment_ptr 1
		.amdhsa_user_sgpr_dispatch_id 0
		.amdhsa_user_sgpr_kernarg_preload_length 0
		.amdhsa_user_sgpr_kernarg_preload_offset 0
		.amdhsa_user_sgpr_private_segment_size 0
		.amdhsa_wavefront_size32 1
		.amdhsa_uses_dynamic_stack 0
		.amdhsa_enable_private_segment 0
		.amdhsa_system_sgpr_workgroup_id_x 1
		.amdhsa_system_sgpr_workgroup_id_y 1
		.amdhsa_system_sgpr_workgroup_id_z 0
		.amdhsa_system_sgpr_workgroup_info 0
		.amdhsa_system_vgpr_workitem_id 1
		.amdhsa_next_free_vgpr 52
		.amdhsa_next_free_sgpr 43
		.amdhsa_named_barrier_count 0
		.amdhsa_reserve_vcc 1
		.amdhsa_float_round_mode_32 0
		.amdhsa_float_round_mode_16_64 0
		.amdhsa_float_denorm_mode_32 3
		.amdhsa_float_denorm_mode_16_64 3
		.amdhsa_fp16_overflow 0
		.amdhsa_memory_ordered 1
		.amdhsa_forward_progress 1
		.amdhsa_inst_pref_size 17
		.amdhsa_round_robin_scheduling 0
		.amdhsa_exception_fp_ieee_invalid_op 0
		.amdhsa_exception_fp_denorm_src 0
		.amdhsa_exception_fp_ieee_div_zero 0
		.amdhsa_exception_fp_ieee_overflow 0
		.amdhsa_exception_fp_ieee_underflow 0
		.amdhsa_exception_fp_ieee_inexact 0
		.amdhsa_exception_int_div_zero 0
	.end_amdhsa_kernel
	.section	.text._ZN9rocsparseL29bsrmm_general_blockdim_kernelILj32ELj32EllDF16_DF16_ffEEvb20rocsparse_direction_T2_S2_llNS_24const_host_device_scalarIT6_EEPKT1_PKS2_PKT3_S2_PKT4_llS5_PT5_ll16rocsparse_order_21rocsparse_index_base_b,"axG",@progbits,_ZN9rocsparseL29bsrmm_general_blockdim_kernelILj32ELj32EllDF16_DF16_ffEEvb20rocsparse_direction_T2_S2_llNS_24const_host_device_scalarIT6_EEPKT1_PKS2_PKT3_S2_PKT4_llS5_PT5_ll16rocsparse_order_21rocsparse_index_base_b,comdat
.Lfunc_end14:
	.size	_ZN9rocsparseL29bsrmm_general_blockdim_kernelILj32ELj32EllDF16_DF16_ffEEvb20rocsparse_direction_T2_S2_llNS_24const_host_device_scalarIT6_EEPKT1_PKS2_PKT3_S2_PKT4_llS5_PT5_ll16rocsparse_order_21rocsparse_index_base_b, .Lfunc_end14-_ZN9rocsparseL29bsrmm_general_blockdim_kernelILj32ELj32EllDF16_DF16_ffEEvb20rocsparse_direction_T2_S2_llNS_24const_host_device_scalarIT6_EEPKT1_PKS2_PKT3_S2_PKT4_llS5_PT5_ll16rocsparse_order_21rocsparse_index_base_b
                                        ; -- End function
	.set _ZN9rocsparseL29bsrmm_general_blockdim_kernelILj32ELj32EllDF16_DF16_ffEEvb20rocsparse_direction_T2_S2_llNS_24const_host_device_scalarIT6_EEPKT1_PKS2_PKT3_S2_PKT4_llS5_PT5_ll16rocsparse_order_21rocsparse_index_base_b.num_vgpr, 52
	.set _ZN9rocsparseL29bsrmm_general_blockdim_kernelILj32ELj32EllDF16_DF16_ffEEvb20rocsparse_direction_T2_S2_llNS_24const_host_device_scalarIT6_EEPKT1_PKS2_PKT3_S2_PKT4_llS5_PT5_ll16rocsparse_order_21rocsparse_index_base_b.num_agpr, 0
	.set _ZN9rocsparseL29bsrmm_general_blockdim_kernelILj32ELj32EllDF16_DF16_ffEEvb20rocsparse_direction_T2_S2_llNS_24const_host_device_scalarIT6_EEPKT1_PKS2_PKT3_S2_PKT4_llS5_PT5_ll16rocsparse_order_21rocsparse_index_base_b.numbered_sgpr, 43
	.set _ZN9rocsparseL29bsrmm_general_blockdim_kernelILj32ELj32EllDF16_DF16_ffEEvb20rocsparse_direction_T2_S2_llNS_24const_host_device_scalarIT6_EEPKT1_PKS2_PKT3_S2_PKT4_llS5_PT5_ll16rocsparse_order_21rocsparse_index_base_b.num_named_barrier, 0
	.set _ZN9rocsparseL29bsrmm_general_blockdim_kernelILj32ELj32EllDF16_DF16_ffEEvb20rocsparse_direction_T2_S2_llNS_24const_host_device_scalarIT6_EEPKT1_PKS2_PKT3_S2_PKT4_llS5_PT5_ll16rocsparse_order_21rocsparse_index_base_b.private_seg_size, 0
	.set _ZN9rocsparseL29bsrmm_general_blockdim_kernelILj32ELj32EllDF16_DF16_ffEEvb20rocsparse_direction_T2_S2_llNS_24const_host_device_scalarIT6_EEPKT1_PKS2_PKT3_S2_PKT4_llS5_PT5_ll16rocsparse_order_21rocsparse_index_base_b.uses_vcc, 1
	.set _ZN9rocsparseL29bsrmm_general_blockdim_kernelILj32ELj32EllDF16_DF16_ffEEvb20rocsparse_direction_T2_S2_llNS_24const_host_device_scalarIT6_EEPKT1_PKS2_PKT3_S2_PKT4_llS5_PT5_ll16rocsparse_order_21rocsparse_index_base_b.uses_flat_scratch, 0
	.set _ZN9rocsparseL29bsrmm_general_blockdim_kernelILj32ELj32EllDF16_DF16_ffEEvb20rocsparse_direction_T2_S2_llNS_24const_host_device_scalarIT6_EEPKT1_PKS2_PKT3_S2_PKT4_llS5_PT5_ll16rocsparse_order_21rocsparse_index_base_b.has_dyn_sized_stack, 0
	.set _ZN9rocsparseL29bsrmm_general_blockdim_kernelILj32ELj32EllDF16_DF16_ffEEvb20rocsparse_direction_T2_S2_llNS_24const_host_device_scalarIT6_EEPKT1_PKS2_PKT3_S2_PKT4_llS5_PT5_ll16rocsparse_order_21rocsparse_index_base_b.has_recursion, 0
	.set _ZN9rocsparseL29bsrmm_general_blockdim_kernelILj32ELj32EllDF16_DF16_ffEEvb20rocsparse_direction_T2_S2_llNS_24const_host_device_scalarIT6_EEPKT1_PKS2_PKT3_S2_PKT4_llS5_PT5_ll16rocsparse_order_21rocsparse_index_base_b.has_indirect_call, 0
	.section	.AMDGPU.csdata,"",@progbits
; Kernel info:
; codeLenInByte = 2124
; TotalNumSgprs: 45
; NumVgprs: 52
; ScratchSize: 0
; MemoryBound: 0
; FloatMode: 240
; IeeeMode: 1
; LDSByteSize: 8192 bytes/workgroup (compile time only)
; SGPRBlocks: 0
; VGPRBlocks: 3
; NumSGPRsForWavesPerEU: 45
; NumVGPRsForWavesPerEU: 52
; NamedBarCnt: 0
; Occupancy: 16
; WaveLimiterHint : 1
; COMPUTE_PGM_RSRC2:SCRATCH_EN: 0
; COMPUTE_PGM_RSRC2:USER_SGPR: 2
; COMPUTE_PGM_RSRC2:TRAP_HANDLER: 0
; COMPUTE_PGM_RSRC2:TGID_X_EN: 1
; COMPUTE_PGM_RSRC2:TGID_Y_EN: 1
; COMPUTE_PGM_RSRC2:TGID_Z_EN: 0
; COMPUTE_PGM_RSRC2:TIDIG_COMP_CNT: 1
	.section	.text._ZN9rocsparseL29bsrmm_general_blockdim_kernelILj32ELj32EiiaaiiEEvb20rocsparse_direction_T2_S2_llNS_24const_host_device_scalarIT6_EEPKT1_PKS2_PKT3_S2_PKT4_llS5_PT5_ll16rocsparse_order_21rocsparse_index_base_b,"axG",@progbits,_ZN9rocsparseL29bsrmm_general_blockdim_kernelILj32ELj32EiiaaiiEEvb20rocsparse_direction_T2_S2_llNS_24const_host_device_scalarIT6_EEPKT1_PKS2_PKT3_S2_PKT4_llS5_PT5_ll16rocsparse_order_21rocsparse_index_base_b,comdat
	.globl	_ZN9rocsparseL29bsrmm_general_blockdim_kernelILj32ELj32EiiaaiiEEvb20rocsparse_direction_T2_S2_llNS_24const_host_device_scalarIT6_EEPKT1_PKS2_PKT3_S2_PKT4_llS5_PT5_ll16rocsparse_order_21rocsparse_index_base_b ; -- Begin function _ZN9rocsparseL29bsrmm_general_blockdim_kernelILj32ELj32EiiaaiiEEvb20rocsparse_direction_T2_S2_llNS_24const_host_device_scalarIT6_EEPKT1_PKS2_PKT3_S2_PKT4_llS5_PT5_ll16rocsparse_order_21rocsparse_index_base_b
	.p2align	8
	.type	_ZN9rocsparseL29bsrmm_general_blockdim_kernelILj32ELj32EiiaaiiEEvb20rocsparse_direction_T2_S2_llNS_24const_host_device_scalarIT6_EEPKT1_PKS2_PKT3_S2_PKT4_llS5_PT5_ll16rocsparse_order_21rocsparse_index_base_b,@function
_ZN9rocsparseL29bsrmm_general_blockdim_kernelILj32ELj32EiiaaiiEEvb20rocsparse_direction_T2_S2_llNS_24const_host_device_scalarIT6_EEPKT1_PKS2_PKT3_S2_PKT4_llS5_PT5_ll16rocsparse_order_21rocsparse_index_base_b: ; @_ZN9rocsparseL29bsrmm_general_blockdim_kernelILj32ELj32EiiaaiiEEvb20rocsparse_direction_T2_S2_llNS_24const_host_device_scalarIT6_EEPKT1_PKS2_PKT3_S2_PKT4_llS5_PT5_ll16rocsparse_order_21rocsparse_index_base_b
; %bb.0:
	s_clause 0x1
	s_load_b96 s[20:22], s[0:1], 0x80
	s_load_b64 s[4:5], s[0:1], 0x20
	s_mov_b32 s7, -1
	s_wait_kmcnt 0x0
	s_bitcmp1_b32 s22, 0
                                        ; implicit-def: $sgpr22
	s_cselect_b32 s2, -1, 0
	s_delay_alu instid0(SALU_CYCLE_1) | instskip(NEXT) | instid1(SALU_CYCLE_1)
	s_xor_b32 s6, s2, -1
	s_and_b32 vcc_lo, exec_lo, s6
	s_cbranch_vccnz .LBB15_4
; %bb.1:
	s_load_b64 s[2:3], s[0:1], 0x60
	s_and_not1_b32 vcc_lo, exec_lo, s7
	s_cbranch_vccz .LBB15_5
.LBB15_2:
	s_and_b32 vcc_lo, exec_lo, s6
	s_cbranch_vccz .LBB15_6
.LBB15_3:
	s_wait_kmcnt 0x0
	s_load_b32 s23, s[2:3], 0x0
	s_wait_xcnt 0x0
	s_cbranch_execz .LBB15_7
	s_branch .LBB15_8
.LBB15_4:
	s_load_b32 s22, s[4:5], 0x0
	s_load_b64 s[2:3], s[0:1], 0x60
	s_cbranch_execnz .LBB15_2
.LBB15_5:
	s_wait_kmcnt 0x0
	s_mov_b32 s22, s4
	s_and_b32 vcc_lo, exec_lo, s6
	s_cbranch_vccnz .LBB15_3
.LBB15_6:
	s_wait_kmcnt 0x0
                                        ; implicit-def: $sgpr23
.LBB15_7:
	s_wait_kmcnt 0x0
	s_mov_b32 s23, s2
.LBB15_8:
	s_cmp_eq_u32 s22, 0
	s_mov_b32 s24, 0
	s_cselect_b32 s2, -1, 0
	s_wait_kmcnt 0x0
	s_cmp_eq_u32 s23, 1
	s_cselect_b32 s3, -1, 0
	s_delay_alu instid0(SALU_CYCLE_1) | instskip(NEXT) | instid1(SALU_CYCLE_1)
	s_and_b32 s2, s2, s3
	s_and_b32 vcc_lo, exec_lo, s2
	s_cbranch_vccnz .LBB15_59
; %bb.9:
	s_clause 0x1
	s_load_b128 s[16:19], s[0:1], 0x0
	s_load_b64 s[4:5], s[0:1], 0x28
	s_bfe_u32 s2, ttmp6, 0x4000c
	s_and_b32 s3, ttmp6, 15
	s_add_co_i32 s2, s2, 1
	s_getreg_b32 s12, hwreg(HW_REG_IB_STS2, 6, 4)
	s_mul_i32 s2, ttmp9, s2
	s_delay_alu instid0(SALU_CYCLE_1)
	s_add_co_i32 s3, s3, s2
	s_cmp_eq_u32 s12, 0
	s_cselect_b32 s2, ttmp9, s3
	s_wait_kmcnt 0x0
	s_cmp_lt_i32 s2, s18
	s_cselect_b32 s29, -1, 0
	s_cmp_ge_i32 s2, s18
	s_cbranch_scc0 .LBB15_12
; %bb.10:
	s_and_not1_b32 vcc_lo, exec_lo, s29
	s_mov_b32 s18, 0
	s_cbranch_vccz .LBB15_13
.LBB15_11:
	s_load_b32 s25, s[0:1], 0x40
	s_wait_kmcnt 0x0
	s_cmp_lt_i32 s25, 1
	s_cbranch_scc0 .LBB15_14
	s_branch .LBB15_59
.LBB15_12:
	s_ashr_i32 s3, s2, 31
	s_delay_alu instid0(SALU_CYCLE_1) | instskip(NEXT) | instid1(SALU_CYCLE_1)
	s_lshl_b64 s[6:7], s[2:3], 2
	s_add_nc_u64 s[6:7], s[4:5], s[6:7]
	s_load_b32 s3, s[6:7], 0x0
	s_wait_kmcnt 0x0
	s_sub_co_i32 s24, s3, s21
	s_and_not1_b32 vcc_lo, exec_lo, s29
	s_mov_b32 s18, 0
	s_cbranch_vccnz .LBB15_11
.LBB15_13:
	s_ashr_i32 s3, s2, 31
	s_delay_alu instid0(SALU_CYCLE_1) | instskip(NEXT) | instid1(SALU_CYCLE_1)
	s_lshl_b64 s[6:7], s[2:3], 2
	s_add_nc_u64 s[4:5], s[4:5], s[6:7]
	s_load_b32 s3, s[4:5], 0x4
	s_wait_kmcnt 0x0
	s_sub_co_i32 s18, s3, s21
	s_load_b32 s25, s[0:1], 0x40
	s_wait_kmcnt 0x0
	s_cmp_lt_i32 s25, 1
	s_cbranch_scc1 .LBB15_59
.LBB15_14:
	s_bitcmp1_b32 s16, 0
	s_load_b128 s[4:7], s[0:1], 0x68
	s_cselect_b32 s3, -1, 0
	s_bfe_u32 s13, ttmp6, 0x40010
	s_bfe_u32 s14, ttmp6, 0x40004
	s_add_co_i32 s13, s13, 1
	s_load_b128 s[8:11], s[0:1], 0x48
	s_mul_i32 s13, ttmp7, s13
	v_bfe_u32 v10, v0, 10, 10
	s_xor_b32 s16, s3, -1
	s_add_co_i32 s14, s14, s13
	s_cmp_eq_u32 s12, 0
	v_and_b32_e32 v11, 0x3ff, v0
	s_cselect_b32 s3, ttmp7, s14
	s_load_b128 s[12:15], s[0:1], 0x30
	v_lshl_add_u32 v4, s3, 5, v10
	v_lshlrev_b32_e32 v13, 7, v10
	v_mad_u32 v2, s24, s25, v11
	v_lshlrev_b32_e32 v12, 2, v11
	s_cmp_lt_i32 s24, s18
	v_ashrrev_i32_e32 v5, 31, v4
	s_wait_xcnt 0x0
	v_cmp_gt_i32_e64 s0, s19, v4
	s_cselect_b32 s28, -1, 0
	v_or_b32_e32 v3, 0x1000, v12
	s_cmp_lg_u32 s17, 0
	s_wait_kmcnt 0x0
	v_mul_u64_e32 v[6:7], s[6:7], v[4:5]
	v_mad_nc_u64_u32 v[0:1], s10, v4, s[8:9]
	v_dual_add_nc_u32 v14, v12, v13 :: v_dual_add_nc_u32 v17, v3, v13
	v_mad_u32 v18, s25, v2, v10
	s_cselect_b32 s17, -1, 0
	v_add_nc_u64_e32 v[2:3], s[8:9], v[4:5]
	s_and_b32 s8, s29, s0
	s_cmp_lg_u32 s23, 0
	v_add_nc_u32_e32 v15, 0x400, v12
	v_add_nc_u32_e32 v16, 0x800, v12
	;; [unrolled: 1-line block ×3, first 2 shown]
	v_mad_u32 v1, s11, v4, v1
	s_cselect_b32 s9, -1, 0
	s_cmp_lg_u32 s20, 1
	s_mov_b32 s26, 0
	s_mul_i32 s27, s25, s2
	s_mul_i32 s19, s25, s25
	s_delay_alu instid0(VALU_DEP_1)
	v_mad_u32 v1, s10, v5, v1
	v_lshl_add_u64 v[4:5], v[4:5], 2, s[4:5]
	v_lshl_add_u64 v[6:7], v[6:7], 2, s[4:5]
	s_cselect_b32 s4, -1, 0
	s_lshl_b32 s5, s25, 5
	s_branch .LBB15_16
.LBB15_15:                              ;   in Loop: Header=BB15_16 Depth=1
	s_wait_xcnt 0x0
	s_or_b32 exec_lo, exec_lo, s1
	v_add_nc_u32_e32 v18, s5, v18
	s_add_co_i32 s26, s26, 32
	s_delay_alu instid0(SALU_CYCLE_1)
	s_cmp_lt_i32 s26, s25
	s_cbranch_scc0 .LBB15_59
.LBB15_16:                              ; =>This Loop Header: Depth=1
                                        ;     Child Loop BB15_19 Depth 2
                                        ;       Child Loop BB15_21 Depth 3
	v_dual_add_nc_u32 v8, s26, v11 :: v_dual_mov_b32 v20, 0
	s_and_not1_b32 vcc_lo, exec_lo, s28
	s_delay_alu instid0(VALU_DEP_1)
	v_cmp_gt_i32_e64 s1, s25, v8
	s_cbranch_vccnz .LBB15_47
; %bb.17:                               ;   in Loop: Header=BB15_16 Depth=1
	v_dual_mov_b32 v20, 0 :: v_dual_mov_b32 v9, v18
	s_mov_b32 s2, s24
	s_branch .LBB15_19
.LBB15_18:                              ;   in Loop: Header=BB15_19 Depth=2
	v_add_nc_u32_e32 v9, s19, v9
	s_add_co_i32 s2, s2, 1
	s_delay_alu instid0(SALU_CYCLE_1)
	s_cmp_ge_i32 s2, s18
	s_cbranch_scc1 .LBB15_47
.LBB15_19:                              ;   Parent Loop BB15_16 Depth=1
                                        ; =>  This Loop Header: Depth=2
                                        ;       Child Loop BB15_21 Depth 3
	s_ashr_i32 s3, s2, 31
	s_mov_b32 s20, 0
	s_lshl_b64 s[30:31], s[2:3], 2
	s_delay_alu instid0(SALU_CYCLE_1) | instskip(SKIP_3) | instid1(SALU_CYCLE_1)
	s_add_nc_u64 s[30:31], s[12:13], s[30:31]
	s_load_b32 s3, s[30:31], 0x0
	s_wait_kmcnt 0x0
	s_sub_co_i32 s3, s3, s21
	v_mad_u32 v21, s3, s25, v11
	s_mul_i32 s3, s2, s25
	s_branch .LBB15_21
.LBB15_20:                              ;   in Loop: Header=BB15_21 Depth=3
	s_wait_xcnt 0x0
	s_or_b32 exec_lo, exec_lo, s30
	s_wait_loadcnt 0x0
	ds_store_b32 v14, v23
	s_wait_dscnt 0x0
	s_barrier_signal -1
	s_barrier_wait -1
	ds_load_2addr_b32 v[30:31], v12 offset1:32
	ds_load_b128 v[22:25], v13 offset:4096
	ds_load_b128 v[26:29], v13 offset:4112
	ds_load_2addr_b32 v[32:33], v12 offset0:64 offset1:96
	s_add_co_i32 s20, s20, 32
	s_delay_alu instid0(SALU_CYCLE_1) | instskip(SKIP_2) | instid1(VALU_DEP_1)
	s_cmp_ge_i32 s20, s25
	s_wait_dscnt 0x2
	v_mad_u32 v20, v22, v30, v20
	v_mad_u32 v20, v23, v31, v20
	ds_load_2addr_b32 v[22:23], v12 offset0:128 offset1:160
	ds_load_2addr_b32 v[30:31], v12 offset0:192 offset1:224
	s_wait_dscnt 0x2
	v_mad_u32 v20, v24, v32, v20
	s_delay_alu instid0(VALU_DEP_1) | instskip(SKIP_1) | instid1(VALU_DEP_1)
	v_mad_u32 v20, v25, v33, v20
	s_wait_dscnt 0x1
	v_mad_u32 v20, v26, v22, v20
	s_delay_alu instid0(VALU_DEP_1) | instskip(SKIP_4) | instid1(VALU_DEP_1)
	v_mad_u32 v20, v27, v23, v20
	ds_load_b128 v[22:25], v13 offset:4128
	ds_load_2addr_b32 v[32:33], v15 offset1:32
	s_wait_dscnt 0x2
	v_mad_u32 v20, v28, v30, v20
	v_mad_u32 v20, v29, v31, v20
	ds_load_2addr_b32 v[30:31], v15 offset0:64 offset1:96
	ds_load_b128 v[26:29], v13 offset:4144
	s_wait_dscnt 0x2
	v_mad_u32 v20, v22, v32, v20
	s_delay_alu instid0(VALU_DEP_1) | instskip(SKIP_3) | instid1(VALU_DEP_1)
	v_mad_u32 v20, v23, v33, v20
	ds_load_2addr_b32 v[22:23], v15 offset0:128 offset1:160
	s_wait_dscnt 0x2
	v_mad_u32 v20, v24, v30, v20
	v_mad_u32 v20, v25, v31, v20
	ds_load_2addr_b32 v[30:31], v15 offset0:192 offset1:224
	s_wait_dscnt 0x1
	v_mad_u32 v20, v26, v22, v20
	s_delay_alu instid0(VALU_DEP_1) | instskip(SKIP_4) | instid1(VALU_DEP_1)
	v_mad_u32 v20, v27, v23, v20
	ds_load_2addr_b32 v[32:33], v16 offset1:32
	ds_load_b128 v[22:25], v13 offset:4160
	s_wait_dscnt 0x2
	v_mad_u32 v20, v28, v30, v20
	v_mad_u32 v20, v29, v31, v20
	ds_load_2addr_b32 v[30:31], v16 offset0:64 offset1:96
	ds_load_b128 v[26:29], v13 offset:4176
	s_wait_dscnt 0x2
	v_mad_u32 v20, v22, v32, v20
	s_delay_alu instid0(VALU_DEP_1) | instskip(SKIP_3) | instid1(VALU_DEP_1)
	v_mad_u32 v20, v23, v33, v20
	ds_load_2addr_b32 v[22:23], v16 offset0:128 offset1:160
	s_wait_dscnt 0x2
	v_mad_u32 v20, v24, v30, v20
	v_mad_u32 v20, v25, v31, v20
	ds_load_2addr_b32 v[30:31], v16 offset0:192 offset1:224
	s_wait_dscnt 0x1
	v_mad_u32 v20, v26, v22, v20
	s_delay_alu instid0(VALU_DEP_1) | instskip(SKIP_4) | instid1(VALU_DEP_1)
	v_mad_u32 v20, v27, v23, v20
	ds_load_2addr_b32 v[32:33], v19 offset1:32
	ds_load_b128 v[22:25], v13 offset:4192
	s_wait_dscnt 0x2
	v_mad_u32 v20, v28, v30, v20
	v_mad_u32 v20, v29, v31, v20
	ds_load_2addr_b32 v[30:31], v19 offset0:64 offset1:96
	ds_load_b128 v[26:29], v13 offset:4208
	s_wait_dscnt 0x2
	v_mad_u32 v20, v22, v32, v20
	s_delay_alu instid0(VALU_DEP_1) | instskip(SKIP_3) | instid1(VALU_DEP_1)
	v_mad_u32 v20, v23, v33, v20
	ds_load_2addr_b32 v[22:23], v19 offset0:128 offset1:160
	s_wait_dscnt 0x2
	v_mad_u32 v20, v24, v30, v20
	v_mad_u32 v20, v25, v31, v20
	ds_load_2addr_b32 v[24:25], v19 offset0:192 offset1:224
	s_wait_dscnt 0x0
	s_barrier_signal -1
	s_barrier_wait -1
	v_mad_u32 v20, v26, v22, v20
	s_delay_alu instid0(VALU_DEP_1) | instskip(NEXT) | instid1(VALU_DEP_1)
	v_mad_u32 v20, v27, v23, v20
	v_mad_u32 v20, v28, v24, v20
	s_delay_alu instid0(VALU_DEP_1)
	v_mad_u32 v20, v29, v25, v20
	s_cbranch_scc1 .LBB15_18
.LBB15_21:                              ;   Parent Loop BB15_16 Depth=1
                                        ;     Parent Loop BB15_19 Depth=2
                                        ; =>    This Inner Loop Header: Depth=3
	s_and_b32 vcc_lo, exec_lo, s16
	s_mov_b32 s29, -1
                                        ; implicit-def: $vgpr22
	s_cbranch_vccnz .LBB15_30
; %bb.22:                               ;   in Loop: Header=BB15_21 Depth=3
	s_and_not1_b32 vcc_lo, exec_lo, s29
	s_cbranch_vccz .LBB15_35
.LBB15_23:                              ;   in Loop: Header=BB15_21 Depth=3
	s_and_b32 vcc_lo, exec_lo, s17
	s_wait_loadcnt 0x0
	ds_store_b32 v17, v22
	s_cbranch_vccz .LBB15_40
.LBB15_24:                              ;   in Loop: Header=BB15_21 Depth=3
	s_wait_xcnt 0x0
	s_mov_b32 s30, 0
	s_mov_b32 s29, 0
                                        ; implicit-def: $vgpr22
	s_and_saveexec_b32 s31, s1
	s_cbranch_execz .LBB15_28
; %bb.25:                               ;   in Loop: Header=BB15_21 Depth=3
	v_add_nc_u32_e32 v23, s20, v10
	s_mov_b32 s33, exec_lo
                                        ; implicit-def: $vgpr22
	s_delay_alu instid0(VALU_DEP_1)
	v_cmpx_gt_i32_e64 s25, v23
	s_xor_b32 s33, exec_lo, s33
; %bb.26:                               ;   in Loop: Header=BB15_21 Depth=3
	v_add_nc_u32_e32 v22, s3, v23
	s_mov_b32 s29, exec_lo
	s_delay_alu instid0(VALU_DEP_1)
	v_mad_u32 v22, v22, s25, v8
; %bb.27:                               ;   in Loop: Header=BB15_21 Depth=3
	s_or_b32 exec_lo, exec_lo, s33
	s_delay_alu instid0(SALU_CYCLE_1)
	s_and_b32 s29, s29, exec_lo
.LBB15_28:                              ;   in Loop: Header=BB15_21 Depth=3
	s_or_b32 exec_lo, exec_lo, s31
	s_delay_alu instid0(SALU_CYCLE_1)
	s_and_b32 vcc_lo, exec_lo, s30
	s_cbranch_vccnz .LBB15_41
.LBB15_29:                              ;   in Loop: Header=BB15_21 Depth=3
	v_mov_b32_e32 v23, 0
	s_and_saveexec_b32 s30, s29
	s_cbranch_execz .LBB15_20
	s_branch .LBB15_46
.LBB15_30:                              ;   in Loop: Header=BB15_21 Depth=3
	v_mov_b32_e32 v22, 0
	s_and_saveexec_b32 s29, s0
	s_cbranch_execz .LBB15_34
; %bb.31:                               ;   in Loop: Header=BB15_21 Depth=3
	v_add_nc_u32_e32 v22, s20, v11
	s_delay_alu instid0(VALU_DEP_1)
	v_cmp_gt_i32_e32 vcc_lo, s25, v22
	v_mov_b32_e32 v22, 0
	s_wait_xcnt 0x0
	s_and_saveexec_b32 s30, vcc_lo
	s_cbranch_execz .LBB15_33
; %bb.32:                               ;   in Loop: Header=BB15_21 Depth=3
	v_add_nc_u32_e32 v24, s20, v21
	s_delay_alu instid0(VALU_DEP_1) | instskip(NEXT) | instid1(VALU_DEP_1)
	v_mad_nc_u64_u32 v[22:23], s10, v24, v[2:3]
	v_mad_u32 v23, s11, v24, v23
	v_ashrrev_i32_e32 v24, 31, v24
	s_delay_alu instid0(VALU_DEP_1)
	v_mad_u32 v23, s10, v24, v23
	global_load_i8 v22, v[22:23], off
.LBB15_33:                              ;   in Loop: Header=BB15_21 Depth=3
	s_wait_xcnt 0x0
	s_or_b32 exec_lo, exec_lo, s30
.LBB15_34:                              ;   in Loop: Header=BB15_21 Depth=3
	s_delay_alu instid0(SALU_CYCLE_1)
	s_or_b32 exec_lo, exec_lo, s29
	s_cbranch_execnz .LBB15_23
.LBB15_35:                              ;   in Loop: Header=BB15_21 Depth=3
	s_wait_loadcnt 0x0
	v_mov_b32_e32 v22, 0
	s_and_saveexec_b32 s29, s0
	s_cbranch_execz .LBB15_39
; %bb.36:                               ;   in Loop: Header=BB15_21 Depth=3
	v_add_nc_u32_e32 v22, s20, v11
	s_delay_alu instid0(VALU_DEP_1)
	v_cmp_gt_i32_e32 vcc_lo, s25, v22
	v_mov_b32_e32 v22, 0
	s_wait_xcnt 0x0
	s_and_saveexec_b32 s30, vcc_lo
	s_cbranch_execz .LBB15_38
; %bb.37:                               ;   in Loop: Header=BB15_21 Depth=3
	v_add_nc_u32_e32 v22, s20, v21
	s_delay_alu instid0(VALU_DEP_1) | instskip(NEXT) | instid1(VALU_DEP_1)
	v_ashrrev_i32_e32 v23, 31, v22
	v_add_nc_u64_e32 v[22:23], v[0:1], v[22:23]
	global_load_i8 v22, v[22:23], off
.LBB15_38:                              ;   in Loop: Header=BB15_21 Depth=3
	s_wait_xcnt 0x0
	s_or_b32 exec_lo, exec_lo, s30
.LBB15_39:                              ;   in Loop: Header=BB15_21 Depth=3
	s_delay_alu instid0(SALU_CYCLE_1) | instskip(NEXT) | instid1(SALU_CYCLE_1)
	s_or_b32 exec_lo, exec_lo, s29
	s_and_b32 vcc_lo, exec_lo, s17
	s_wait_loadcnt 0x0
	ds_store_b32 v17, v22
	s_cbranch_vccnz .LBB15_24
.LBB15_40:                              ;   in Loop: Header=BB15_21 Depth=3
	s_wait_xcnt 0x0
	s_mov_b32 s29, 0
                                        ; implicit-def: $vgpr22
	s_cbranch_execz .LBB15_29
.LBB15_41:                              ;   in Loop: Header=BB15_21 Depth=3
                                        ; implicit-def: $vgpr22
	s_and_saveexec_b32 s30, s1
	s_cbranch_execz .LBB15_45
; %bb.42:                               ;   in Loop: Header=BB15_21 Depth=3
	v_add_nc_u32_e32 v22, s20, v10
	s_mov_b32 s31, s29
	s_delay_alu instid0(VALU_DEP_1)
	v_cmp_gt_i32_e32 vcc_lo, s25, v22
                                        ; implicit-def: $vgpr22
	s_and_saveexec_b32 s33, vcc_lo
; %bb.43:                               ;   in Loop: Header=BB15_21 Depth=3
	v_add_nc_u32_e32 v22, s20, v9
	s_or_b32 s31, s29, exec_lo
; %bb.44:                               ;   in Loop: Header=BB15_21 Depth=3
	s_or_b32 exec_lo, exec_lo, s33
	s_delay_alu instid0(SALU_CYCLE_1) | instskip(SKIP_1) | instid1(SALU_CYCLE_1)
	s_and_not1_b32 s29, s29, exec_lo
	s_and_b32 s31, s31, exec_lo
	s_or_b32 s29, s29, s31
.LBB15_45:                              ;   in Loop: Header=BB15_21 Depth=3
	s_or_b32 exec_lo, exec_lo, s30
	v_mov_b32_e32 v23, 0
	s_and_saveexec_b32 s30, s29
	s_cbranch_execz .LBB15_20
.LBB15_46:                              ;   in Loop: Header=BB15_21 Depth=3
	global_load_i8 v23, v22, s[14:15]
	s_branch .LBB15_20
.LBB15_47:                              ;   in Loop: Header=BB15_16 Depth=1
	v_cmp_gt_i32_e32 vcc_lo, s25, v8
	s_and_b32 s2, s8, vcc_lo
	s_delay_alu instid0(SALU_CYCLE_1)
	s_and_saveexec_b32 s1, s2
	s_cbranch_execz .LBB15_15
; %bb.48:                               ;   in Loop: Header=BB15_16 Depth=1
	v_add_nc_u32_e32 v8, s27, v8
	s_and_b32 vcc_lo, exec_lo, s9
	s_delay_alu instid0(VALU_DEP_1)
	v_ashrrev_i32_e32 v9, 31, v8
	s_cbranch_vccz .LBB15_54
; %bb.49:                               ;   in Loop: Header=BB15_16 Depth=1
	s_and_b32 vcc_lo, exec_lo, s4
	s_mov_b32 s2, -1
	s_cbranch_vccz .LBB15_51
; %bb.50:                               ;   in Loop: Header=BB15_16 Depth=1
	v_mul_u64_e32 v[22:23], s[6:7], v[8:9]
	v_mul_lo_u32 v24, v20, s22
	s_mov_b32 s2, 0
	s_delay_alu instid0(VALU_DEP_2)
	v_lshl_add_u64 v[22:23], v[22:23], 2, v[4:5]
	global_load_b32 v21, v[22:23], off
	s_wait_loadcnt 0x0
	v_mad_u32 v21, v21, s23, v24
	global_store_b32 v[22:23], v21, off
.LBB15_51:                              ;   in Loop: Header=BB15_16 Depth=1
	s_and_not1_b32 vcc_lo, exec_lo, s2
	s_cbranch_vccnz .LBB15_53
; %bb.52:                               ;   in Loop: Header=BB15_16 Depth=1
	s_wait_xcnt 0x0
	v_lshl_add_u64 v[22:23], v[8:9], 2, v[6:7]
	v_mul_lo_u32 v24, v20, s22
	global_load_b32 v21, v[22:23], off
	s_wait_loadcnt 0x0
	v_mad_u32 v21, v21, s23, v24
	global_store_b32 v[22:23], v21, off
.LBB15_53:                              ;   in Loop: Header=BB15_16 Depth=1
	s_cbranch_execnz .LBB15_15
	s_branch .LBB15_55
.LBB15_54:                              ;   in Loop: Header=BB15_16 Depth=1
.LBB15_55:                              ;   in Loop: Header=BB15_16 Depth=1
	v_mul_lo_u32 v20, v20, s22
	s_and_b32 vcc_lo, exec_lo, s4
	s_mov_b32 s2, -1
	s_cbranch_vccz .LBB15_57
; %bb.56:                               ;   in Loop: Header=BB15_16 Depth=1
	s_wait_xcnt 0x0
	v_mul_u64_e32 v[22:23], s[6:7], v[8:9]
	s_mov_b32 s2, 0
	s_delay_alu instid0(VALU_DEP_1)
	v_lshl_add_u64 v[22:23], v[22:23], 2, v[4:5]
	global_store_b32 v[22:23], v20, off
.LBB15_57:                              ;   in Loop: Header=BB15_16 Depth=1
	s_and_not1_b32 vcc_lo, exec_lo, s2
	s_cbranch_vccnz .LBB15_15
; %bb.58:                               ;   in Loop: Header=BB15_16 Depth=1
	v_lshl_add_u64 v[8:9], v[8:9], 2, v[6:7]
	global_store_b32 v[8:9], v20, off
	s_branch .LBB15_15
.LBB15_59:
	s_endpgm
	.section	.rodata,"a",@progbits
	.p2align	6, 0x0
	.amdhsa_kernel _ZN9rocsparseL29bsrmm_general_blockdim_kernelILj32ELj32EiiaaiiEEvb20rocsparse_direction_T2_S2_llNS_24const_host_device_scalarIT6_EEPKT1_PKS2_PKT3_S2_PKT4_llS5_PT5_ll16rocsparse_order_21rocsparse_index_base_b
		.amdhsa_group_segment_fixed_size 8192
		.amdhsa_private_segment_fixed_size 0
		.amdhsa_kernarg_size 140
		.amdhsa_user_sgpr_count 2
		.amdhsa_user_sgpr_dispatch_ptr 0
		.amdhsa_user_sgpr_queue_ptr 0
		.amdhsa_user_sgpr_kernarg_segment_ptr 1
		.amdhsa_user_sgpr_dispatch_id 0
		.amdhsa_user_sgpr_kernarg_preload_length 0
		.amdhsa_user_sgpr_kernarg_preload_offset 0
		.amdhsa_user_sgpr_private_segment_size 0
		.amdhsa_wavefront_size32 1
		.amdhsa_uses_dynamic_stack 0
		.amdhsa_enable_private_segment 0
		.amdhsa_system_sgpr_workgroup_id_x 1
		.amdhsa_system_sgpr_workgroup_id_y 1
		.amdhsa_system_sgpr_workgroup_id_z 0
		.amdhsa_system_sgpr_workgroup_info 0
		.amdhsa_system_vgpr_workitem_id 1
		.amdhsa_next_free_vgpr 34
		.amdhsa_next_free_sgpr 34
		.amdhsa_named_barrier_count 0
		.amdhsa_reserve_vcc 1
		.amdhsa_float_round_mode_32 0
		.amdhsa_float_round_mode_16_64 0
		.amdhsa_float_denorm_mode_32 3
		.amdhsa_float_denorm_mode_16_64 3
		.amdhsa_fp16_overflow 0
		.amdhsa_memory_ordered 1
		.amdhsa_forward_progress 1
		.amdhsa_inst_pref_size 18
		.amdhsa_round_robin_scheduling 0
		.amdhsa_exception_fp_ieee_invalid_op 0
		.amdhsa_exception_fp_denorm_src 0
		.amdhsa_exception_fp_ieee_div_zero 0
		.amdhsa_exception_fp_ieee_overflow 0
		.amdhsa_exception_fp_ieee_underflow 0
		.amdhsa_exception_fp_ieee_inexact 0
		.amdhsa_exception_int_div_zero 0
	.end_amdhsa_kernel
	.section	.text._ZN9rocsparseL29bsrmm_general_blockdim_kernelILj32ELj32EiiaaiiEEvb20rocsparse_direction_T2_S2_llNS_24const_host_device_scalarIT6_EEPKT1_PKS2_PKT3_S2_PKT4_llS5_PT5_ll16rocsparse_order_21rocsparse_index_base_b,"axG",@progbits,_ZN9rocsparseL29bsrmm_general_blockdim_kernelILj32ELj32EiiaaiiEEvb20rocsparse_direction_T2_S2_llNS_24const_host_device_scalarIT6_EEPKT1_PKS2_PKT3_S2_PKT4_llS5_PT5_ll16rocsparse_order_21rocsparse_index_base_b,comdat
.Lfunc_end15:
	.size	_ZN9rocsparseL29bsrmm_general_blockdim_kernelILj32ELj32EiiaaiiEEvb20rocsparse_direction_T2_S2_llNS_24const_host_device_scalarIT6_EEPKT1_PKS2_PKT3_S2_PKT4_llS5_PT5_ll16rocsparse_order_21rocsparse_index_base_b, .Lfunc_end15-_ZN9rocsparseL29bsrmm_general_blockdim_kernelILj32ELj32EiiaaiiEEvb20rocsparse_direction_T2_S2_llNS_24const_host_device_scalarIT6_EEPKT1_PKS2_PKT3_S2_PKT4_llS5_PT5_ll16rocsparse_order_21rocsparse_index_base_b
                                        ; -- End function
	.set _ZN9rocsparseL29bsrmm_general_blockdim_kernelILj32ELj32EiiaaiiEEvb20rocsparse_direction_T2_S2_llNS_24const_host_device_scalarIT6_EEPKT1_PKS2_PKT3_S2_PKT4_llS5_PT5_ll16rocsparse_order_21rocsparse_index_base_b.num_vgpr, 34
	.set _ZN9rocsparseL29bsrmm_general_blockdim_kernelILj32ELj32EiiaaiiEEvb20rocsparse_direction_T2_S2_llNS_24const_host_device_scalarIT6_EEPKT1_PKS2_PKT3_S2_PKT4_llS5_PT5_ll16rocsparse_order_21rocsparse_index_base_b.num_agpr, 0
	.set _ZN9rocsparseL29bsrmm_general_blockdim_kernelILj32ELj32EiiaaiiEEvb20rocsparse_direction_T2_S2_llNS_24const_host_device_scalarIT6_EEPKT1_PKS2_PKT3_S2_PKT4_llS5_PT5_ll16rocsparse_order_21rocsparse_index_base_b.numbered_sgpr, 34
	.set _ZN9rocsparseL29bsrmm_general_blockdim_kernelILj32ELj32EiiaaiiEEvb20rocsparse_direction_T2_S2_llNS_24const_host_device_scalarIT6_EEPKT1_PKS2_PKT3_S2_PKT4_llS5_PT5_ll16rocsparse_order_21rocsparse_index_base_b.num_named_barrier, 0
	.set _ZN9rocsparseL29bsrmm_general_blockdim_kernelILj32ELj32EiiaaiiEEvb20rocsparse_direction_T2_S2_llNS_24const_host_device_scalarIT6_EEPKT1_PKS2_PKT3_S2_PKT4_llS5_PT5_ll16rocsparse_order_21rocsparse_index_base_b.private_seg_size, 0
	.set _ZN9rocsparseL29bsrmm_general_blockdim_kernelILj32ELj32EiiaaiiEEvb20rocsparse_direction_T2_S2_llNS_24const_host_device_scalarIT6_EEPKT1_PKS2_PKT3_S2_PKT4_llS5_PT5_ll16rocsparse_order_21rocsparse_index_base_b.uses_vcc, 1
	.set _ZN9rocsparseL29bsrmm_general_blockdim_kernelILj32ELj32EiiaaiiEEvb20rocsparse_direction_T2_S2_llNS_24const_host_device_scalarIT6_EEPKT1_PKS2_PKT3_S2_PKT4_llS5_PT5_ll16rocsparse_order_21rocsparse_index_base_b.uses_flat_scratch, 0
	.set _ZN9rocsparseL29bsrmm_general_blockdim_kernelILj32ELj32EiiaaiiEEvb20rocsparse_direction_T2_S2_llNS_24const_host_device_scalarIT6_EEPKT1_PKS2_PKT3_S2_PKT4_llS5_PT5_ll16rocsparse_order_21rocsparse_index_base_b.has_dyn_sized_stack, 0
	.set _ZN9rocsparseL29bsrmm_general_blockdim_kernelILj32ELj32EiiaaiiEEvb20rocsparse_direction_T2_S2_llNS_24const_host_device_scalarIT6_EEPKT1_PKS2_PKT3_S2_PKT4_llS5_PT5_ll16rocsparse_order_21rocsparse_index_base_b.has_recursion, 0
	.set _ZN9rocsparseL29bsrmm_general_blockdim_kernelILj32ELj32EiiaaiiEEvb20rocsparse_direction_T2_S2_llNS_24const_host_device_scalarIT6_EEPKT1_PKS2_PKT3_S2_PKT4_llS5_PT5_ll16rocsparse_order_21rocsparse_index_base_b.has_indirect_call, 0
	.section	.AMDGPU.csdata,"",@progbits
; Kernel info:
; codeLenInByte = 2188
; TotalNumSgprs: 36
; NumVgprs: 34
; ScratchSize: 0
; MemoryBound: 0
; FloatMode: 240
; IeeeMode: 1
; LDSByteSize: 8192 bytes/workgroup (compile time only)
; SGPRBlocks: 0
; VGPRBlocks: 2
; NumSGPRsForWavesPerEU: 36
; NumVGPRsForWavesPerEU: 34
; NamedBarCnt: 0
; Occupancy: 16
; WaveLimiterHint : 1
; COMPUTE_PGM_RSRC2:SCRATCH_EN: 0
; COMPUTE_PGM_RSRC2:USER_SGPR: 2
; COMPUTE_PGM_RSRC2:TRAP_HANDLER: 0
; COMPUTE_PGM_RSRC2:TGID_X_EN: 1
; COMPUTE_PGM_RSRC2:TGID_Y_EN: 1
; COMPUTE_PGM_RSRC2:TGID_Z_EN: 0
; COMPUTE_PGM_RSRC2:TIDIG_COMP_CNT: 1
	.section	.text._ZN9rocsparseL29bsrmm_general_blockdim_kernelILj32ELj32EliaaiiEEvb20rocsparse_direction_T2_S2_llNS_24const_host_device_scalarIT6_EEPKT1_PKS2_PKT3_S2_PKT4_llS5_PT5_ll16rocsparse_order_21rocsparse_index_base_b,"axG",@progbits,_ZN9rocsparseL29bsrmm_general_blockdim_kernelILj32ELj32EliaaiiEEvb20rocsparse_direction_T2_S2_llNS_24const_host_device_scalarIT6_EEPKT1_PKS2_PKT3_S2_PKT4_llS5_PT5_ll16rocsparse_order_21rocsparse_index_base_b,comdat
	.globl	_ZN9rocsparseL29bsrmm_general_blockdim_kernelILj32ELj32EliaaiiEEvb20rocsparse_direction_T2_S2_llNS_24const_host_device_scalarIT6_EEPKT1_PKS2_PKT3_S2_PKT4_llS5_PT5_ll16rocsparse_order_21rocsparse_index_base_b ; -- Begin function _ZN9rocsparseL29bsrmm_general_blockdim_kernelILj32ELj32EliaaiiEEvb20rocsparse_direction_T2_S2_llNS_24const_host_device_scalarIT6_EEPKT1_PKS2_PKT3_S2_PKT4_llS5_PT5_ll16rocsparse_order_21rocsparse_index_base_b
	.p2align	8
	.type	_ZN9rocsparseL29bsrmm_general_blockdim_kernelILj32ELj32EliaaiiEEvb20rocsparse_direction_T2_S2_llNS_24const_host_device_scalarIT6_EEPKT1_PKS2_PKT3_S2_PKT4_llS5_PT5_ll16rocsparse_order_21rocsparse_index_base_b,@function
_ZN9rocsparseL29bsrmm_general_blockdim_kernelILj32ELj32EliaaiiEEvb20rocsparse_direction_T2_S2_llNS_24const_host_device_scalarIT6_EEPKT1_PKS2_PKT3_S2_PKT4_llS5_PT5_ll16rocsparse_order_21rocsparse_index_base_b: ; @_ZN9rocsparseL29bsrmm_general_blockdim_kernelILj32ELj32EliaaiiEEvb20rocsparse_direction_T2_S2_llNS_24const_host_device_scalarIT6_EEPKT1_PKS2_PKT3_S2_PKT4_llS5_PT5_ll16rocsparse_order_21rocsparse_index_base_b
; %bb.0:
	s_clause 0x1
	s_load_b96 s[20:22], s[0:1], 0x80
	s_load_b64 s[4:5], s[0:1], 0x20
	s_mov_b32 s7, -1
                                        ; implicit-def: $sgpr26
	s_wait_kmcnt 0x0
	s_bitcmp1_b32 s22, 0
	s_cselect_b32 s2, -1, 0
	s_delay_alu instid0(SALU_CYCLE_1) | instskip(NEXT) | instid1(SALU_CYCLE_1)
	s_xor_b32 s6, s2, -1
	s_and_b32 vcc_lo, exec_lo, s6
	s_cbranch_vccnz .LBB16_4
; %bb.1:
	s_load_b64 s[2:3], s[0:1], 0x60
	s_and_not1_b32 vcc_lo, exec_lo, s7
	s_cbranch_vccz .LBB16_5
.LBB16_2:
	s_and_b32 vcc_lo, exec_lo, s6
	s_cbranch_vccz .LBB16_6
.LBB16_3:
	s_wait_kmcnt 0x0
	s_load_b32 s27, s[2:3], 0x0
	s_wait_xcnt 0x0
	s_cbranch_execz .LBB16_7
	s_branch .LBB16_8
.LBB16_4:
	s_load_b32 s26, s[4:5], 0x0
	s_load_b64 s[2:3], s[0:1], 0x60
	s_cbranch_execnz .LBB16_2
.LBB16_5:
	s_wait_kmcnt 0x0
	s_mov_b32 s26, s4
	s_and_b32 vcc_lo, exec_lo, s6
	s_cbranch_vccnz .LBB16_3
.LBB16_6:
	s_wait_kmcnt 0x0
                                        ; implicit-def: $sgpr27
.LBB16_7:
	s_wait_kmcnt 0x0
	s_mov_b32 s27, s2
.LBB16_8:
	s_cmp_eq_u32 s26, 0
	s_cselect_b32 s2, -1, 0
	s_wait_kmcnt 0x0
	s_cmp_eq_u32 s27, 1
	s_cselect_b32 s3, -1, 0
	s_delay_alu instid0(SALU_CYCLE_1) | instskip(NEXT) | instid1(SALU_CYCLE_1)
	s_and_b32 s2, s2, s3
	s_and_b32 vcc_lo, exec_lo, s2
	s_cbranch_vccnz .LBB16_55
; %bb.9:
	s_clause 0x1
	s_load_b128 s[16:19], s[0:1], 0x0
	s_load_b64 s[4:5], s[0:1], 0x28
	s_bfe_u32 s2, ttmp6, 0x4000c
	s_and_b32 s3, ttmp6, 15
	s_add_co_i32 s2, s2, 1
	s_getreg_b32 s12, hwreg(HW_REG_IB_STS2, 6, 4)
	s_mul_i32 s2, ttmp9, s2
	s_mov_b64 s[22:23], 0
	s_add_co_i32 s3, s3, s2
	s_cmp_eq_u32 s12, 0
	s_cselect_b32 s24, ttmp9, s3
	s_mov_b64 s[2:3], 0
	s_wait_kmcnt 0x0
	s_cmp_lt_i32 s24, s18
	s_cselect_b32 s30, -1, 0
	s_cmp_ge_i32 s24, s18
	s_cbranch_scc0 .LBB16_12
; %bb.10:
	s_and_not1_b32 vcc_lo, exec_lo, s30
	s_cbranch_vccz .LBB16_13
.LBB16_11:
	s_load_b32 s18, s[0:1], 0x40
	s_wait_kmcnt 0x0
	s_cmp_lt_i32 s18, 1
	s_cbranch_scc0 .LBB16_14
	s_branch .LBB16_55
.LBB16_12:
	s_ashr_i32 s25, s24, 31
	s_mov_b32 s9, 0
	s_lshl_b64 s[6:7], s[24:25], 3
	s_mov_b32 s8, s21
	s_add_nc_u64 s[6:7], s[4:5], s[6:7]
	s_load_b64 s[6:7], s[6:7], 0x0
	s_wait_kmcnt 0x0
	s_sub_nc_u64 s[22:23], s[6:7], s[8:9]
	s_and_not1_b32 vcc_lo, exec_lo, s30
	s_cbranch_vccnz .LBB16_11
.LBB16_13:
	s_ashr_i32 s25, s24, 31
	s_delay_alu instid0(SALU_CYCLE_1) | instskip(NEXT) | instid1(SALU_CYCLE_1)
	s_lshl_b64 s[2:3], s[24:25], 3
	s_add_nc_u64 s[2:3], s[4:5], s[2:3]
	s_mov_b32 s5, 0
	s_load_b64 s[2:3], s[2:3], 0x8
	s_mov_b32 s4, s21
	s_wait_kmcnt 0x0
	s_sub_nc_u64 s[2:3], s[2:3], s[4:5]
	s_load_b32 s18, s[0:1], 0x40
	s_wait_kmcnt 0x0
	s_cmp_lt_i32 s18, 1
	s_cbranch_scc1 .LBB16_55
.LBB16_14:
	s_bitcmp1_b32 s16, 0
	s_load_b128 s[4:7], s[0:1], 0x68
	s_cselect_b32 s13, -1, 0
	s_bfe_u32 s14, ttmp6, 0x40010
	s_bfe_u32 s15, ttmp6, 0x40004
	s_add_co_i32 s14, s14, 1
	s_load_b128 s[8:11], s[0:1], 0x48
	s_mul_i32 s14, ttmp7, s14
	v_bfe_u32 v12, v0, 10, 10
	s_xor_b32 s16, s13, -1
	s_add_co_i32 s15, s15, s14
	s_cmp_eq_u32 s12, 0
	v_and_b32_e32 v13, 0x3ff, v0
	s_cselect_b32 s12, ttmp7, s15
	v_lshlrev_b32_e32 v15, 7, v12
	v_lshl_add_u32 v4, s12, 5, v12
	s_load_b128 s[12:15], s[0:1], 0x30
	s_cmp_lg_u32 s17, 0
	v_lshlrev_b32_e32 v14, 2, v13
	v_cmp_lt_i64_e64 s29, s[22:23], s[2:3]
	v_ashrrev_i32_e32 v5, 31, v4
	s_wait_xcnt 0x0
	v_cmp_gt_i32_e64 s0, s19, v4
	s_cselect_b32 s17, -1, 0
	v_or_b32_e32 v0, 0x1000, v14
	v_add_nc_u32_e32 v16, v14, v15
	s_wait_kmcnt 0x0
	v_mul_u64_e32 v[6:7], s[6:7], v[4:5]
	v_mad_nc_u64_u32 v[2:3], s10, v4, s[8:9]
	s_and_b32 s19, s30, s0
	v_add_nc_u32_e32 v19, v0, v15
	v_add_nc_u64_e32 v[0:1], s[8:9], v[4:5]
	s_cmp_lg_u32 s27, 0
	v_add_nc_u32_e32 v17, 0x400, v14
	v_add_nc_u32_e32 v18, 0x800, v14
	;; [unrolled: 1-line block ×3, first 2 shown]
	s_mov_b32 s25, 0
	s_cselect_b32 s30, -1, 0
	s_cmp_lg_u32 s20, 1
	v_mad_u32 v3, s11, v4, v3
	s_mul_i32 s28, s18, s24
	s_mul_i32 s24, s18, s18
	s_cselect_b32 s20, -1, 0
	s_mov_b32 s31, s25
	s_delay_alu instid0(VALU_DEP_1)
	v_mad_u32 v3, s10, v5, v3
	v_lshl_add_u64 v[4:5], v[4:5], 2, s[4:5]
	v_lshl_add_u64 v[6:7], v[6:7], 2, s[4:5]
	s_branch .LBB16_16
.LBB16_15:                              ;   in Loop: Header=BB16_16 Depth=1
	s_wait_xcnt 0x0
	s_or_b32 exec_lo, exec_lo, s1
	s_add_co_i32 s31, s31, 32
	s_delay_alu instid0(SALU_CYCLE_1)
	s_cmp_lt_i32 s31, s18
	s_cbranch_scc0 .LBB16_55
.LBB16_16:                              ; =>This Loop Header: Depth=1
                                        ;     Child Loop BB16_19 Depth 2
                                        ;       Child Loop BB16_21 Depth 3
	v_dual_mov_b32 v22, 0 :: v_dual_add_nc_u32 v21, s31, v13
	s_and_not1_b32 vcc_lo, exec_lo, s29
	s_delay_alu instid0(VALU_DEP_1)
	v_cmp_gt_i32_e64 s1, s18, v21
	s_cbranch_vccnz .LBB16_43
; %bb.17:                               ;   in Loop: Header=BB16_16 Depth=1
	v_mul_lo_u32 v23, v21, s18
	v_mov_b32_e32 v22, 0
	s_mov_b64 s[4:5], s[22:23]
	s_branch .LBB16_19
.LBB16_18:                              ;   in Loop: Header=BB16_19 Depth=2
	s_add_nc_u64 s[4:5], s[4:5], 1
	s_delay_alu instid0(SALU_CYCLE_1)
	v_cmp_ge_i64_e64 s8, s[4:5], s[2:3]
	s_and_b32 vcc_lo, exec_lo, s8
	s_cbranch_vccnz .LBB16_43
.LBB16_19:                              ;   Parent Loop BB16_16 Depth=1
                                        ; =>  This Loop Header: Depth=2
                                        ;       Child Loop BB16_21 Depth 3
	s_lshl_b64 s[8:9], s[4:5], 2
	s_mov_b32 s33, 0
	s_add_nc_u64 s[8:9], s[12:13], s[8:9]
	s_load_b32 s8, s[8:9], 0x0
	s_wait_kmcnt 0x0
	s_wait_xcnt 0x0
	s_sub_co_i32 s8, s8, s21
	s_delay_alu instid0(SALU_CYCLE_1) | instskip(SKIP_1) | instid1(SALU_CYCLE_1)
	v_mad_u32 v24, s8, s18, v13
	s_mul_u64 s[8:9], s[4:5], s[24:25]
	s_add_nc_u64 s[8:9], s[14:15], s[8:9]
	s_branch .LBB16_21
.LBB16_20:                              ;   in Loop: Header=BB16_21 Depth=3
	s_wait_xcnt 0x0
	s_or_b32 exec_lo, exec_lo, s34
	s_wait_loadcnt 0x0
	ds_store_b32 v16, v9
	s_wait_dscnt 0x0
	s_barrier_signal -1
	s_barrier_wait -1
	ds_load_2addr_b32 v[30:31], v14 offset1:32
	ds_load_b128 v[8:11], v15 offset:4096
	ds_load_b128 v[26:29], v15 offset:4112
	ds_load_2addr_b32 v[32:33], v14 offset0:64 offset1:96
	s_add_co_i32 s33, s33, 32
	s_delay_alu instid0(SALU_CYCLE_1) | instskip(SKIP_2) | instid1(VALU_DEP_1)
	s_cmp_ge_i32 s33, s18
	s_wait_dscnt 0x2
	v_mad_u32 v8, v8, v30, v22
	v_mad_u32 v8, v9, v31, v8
	ds_load_2addr_b32 v[30:31], v14 offset0:192 offset1:224
	s_wait_dscnt 0x1
	v_mad_u32 v10, v10, v32, v8
	ds_load_2addr_b32 v[8:9], v14 offset0:128 offset1:160
	v_mad_u32 v10, v11, v33, v10
	s_wait_dscnt 0x0
	s_delay_alu instid0(VALU_DEP_1) | instskip(NEXT) | instid1(VALU_DEP_1)
	v_mad_u32 v8, v26, v8, v10
	v_mad_u32 v8, v27, v9, v8
	s_delay_alu instid0(VALU_DEP_1)
	v_mad_u32 v22, v28, v30, v8
	ds_load_b128 v[8:11], v15 offset:4128
	ds_load_2addr_b32 v[32:33], v17 offset1:32
	v_mad_u32 v22, v29, v31, v22
	ds_load_2addr_b32 v[30:31], v17 offset0:64 offset1:96
	ds_load_b128 v[26:29], v15 offset:4144
	s_wait_dscnt 0x2
	v_mad_u32 v8, v8, v32, v22
	s_delay_alu instid0(VALU_DEP_1) | instskip(SKIP_1) | instid1(VALU_DEP_1)
	v_mad_u32 v8, v9, v33, v8
	s_wait_dscnt 0x1
	v_mad_u32 v10, v10, v30, v8
	ds_load_2addr_b32 v[8:9], v17 offset0:128 offset1:160
	v_mad_u32 v10, v11, v31, v10
	ds_load_2addr_b32 v[30:31], v17 offset0:192 offset1:224
	s_wait_dscnt 0x1
	v_mad_u32 v8, v26, v8, v10
	s_delay_alu instid0(VALU_DEP_1) | instskip(SKIP_1) | instid1(VALU_DEP_1)
	v_mad_u32 v8, v27, v9, v8
	s_wait_dscnt 0x0
	v_mad_u32 v22, v28, v30, v8
	ds_load_2addr_b32 v[32:33], v18 offset1:32
	ds_load_b128 v[8:11], v15 offset:4160
	v_mad_u32 v22, v29, v31, v22
	ds_load_2addr_b32 v[30:31], v18 offset0:64 offset1:96
	ds_load_b128 v[26:29], v15 offset:4176
	s_wait_dscnt 0x2
	v_mad_u32 v8, v8, v32, v22
	s_delay_alu instid0(VALU_DEP_1) | instskip(SKIP_1) | instid1(VALU_DEP_1)
	v_mad_u32 v8, v9, v33, v8
	s_wait_dscnt 0x1
	v_mad_u32 v10, v10, v30, v8
	ds_load_2addr_b32 v[8:9], v18 offset0:128 offset1:160
	v_mad_u32 v10, v11, v31, v10
	ds_load_2addr_b32 v[30:31], v18 offset0:192 offset1:224
	s_wait_dscnt 0x1
	v_mad_u32 v8, v26, v8, v10
	s_delay_alu instid0(VALU_DEP_1) | instskip(SKIP_1) | instid1(VALU_DEP_1)
	v_mad_u32 v8, v27, v9, v8
	s_wait_dscnt 0x0
	v_mad_u32 v22, v28, v30, v8
	ds_load_2addr_b32 v[32:33], v20 offset1:32
	ds_load_b128 v[8:11], v15 offset:4192
	v_mad_u32 v22, v29, v31, v22
	ds_load_2addr_b32 v[30:31], v20 offset0:64 offset1:96
	ds_load_b128 v[26:29], v15 offset:4208
	s_wait_dscnt 0x2
	v_mad_u32 v8, v8, v32, v22
	s_delay_alu instid0(VALU_DEP_1) | instskip(SKIP_1) | instid1(VALU_DEP_1)
	v_mad_u32 v8, v9, v33, v8
	s_wait_dscnt 0x1
	v_mad_u32 v10, v10, v30, v8
	ds_load_2addr_b32 v[8:9], v20 offset0:128 offset1:160
	v_mad_u32 v10, v11, v31, v10
	s_wait_dscnt 0x0
	s_delay_alu instid0(VALU_DEP_1)
	v_mad_u32 v8, v26, v8, v10
	ds_load_2addr_b32 v[10:11], v20 offset0:192 offset1:224
	s_wait_dscnt 0x0
	s_barrier_signal -1
	s_barrier_wait -1
	v_mad_u32 v8, v27, v9, v8
	s_delay_alu instid0(VALU_DEP_1) | instskip(NEXT) | instid1(VALU_DEP_1)
	v_mad_u32 v8, v28, v10, v8
	v_mad_u32 v22, v29, v11, v8
	s_cbranch_scc1 .LBB16_18
.LBB16_21:                              ;   Parent Loop BB16_16 Depth=1
                                        ;     Parent Loop BB16_19 Depth=2
                                        ; =>    This Inner Loop Header: Depth=3
	s_and_b32 vcc_lo, exec_lo, s16
	s_mov_b32 s34, -1
                                        ; implicit-def: $vgpr8
	s_cbranch_vccnz .LBB16_30
; %bb.22:                               ;   in Loop: Header=BB16_21 Depth=3
	s_and_not1_b32 vcc_lo, exec_lo, s34
	s_cbranch_vccz .LBB16_35
.LBB16_23:                              ;   in Loop: Header=BB16_21 Depth=3
	s_and_b32 vcc_lo, exec_lo, s17
	s_wait_loadcnt 0x0
	ds_store_b32 v19, v8
	s_cbranch_vccz .LBB16_40
.LBB16_24:                              ;   in Loop: Header=BB16_21 Depth=3
	s_mov_b32 s34, 0
	s_mov_b32 s35, 0
                                        ; implicit-def: $vgpr8
	s_and_saveexec_b32 s36, s1
	s_cbranch_execz .LBB16_28
; %bb.25:                               ;   in Loop: Header=BB16_21 Depth=3
	v_add_nc_u32_e32 v9, s33, v12
	s_mov_b32 s37, exec_lo
                                        ; implicit-def: $vgpr8
	s_delay_alu instid0(VALU_DEP_1)
	v_cmpx_gt_i32_e64 s18, v9
	s_xor_b32 s37, exec_lo, s37
; %bb.26:                               ;   in Loop: Header=BB16_21 Depth=3
	s_mov_b32 s35, exec_lo
	v_mul_lo_u32 v8, v9, s18
; %bb.27:                               ;   in Loop: Header=BB16_21 Depth=3
	s_or_b32 exec_lo, exec_lo, s37
	s_delay_alu instid0(SALU_CYCLE_1)
	s_and_b32 s35, s35, exec_lo
.LBB16_28:                              ;   in Loop: Header=BB16_21 Depth=3
	s_or_b32 exec_lo, exec_lo, s36
	s_delay_alu instid0(SALU_CYCLE_1)
	s_and_b32 vcc_lo, exec_lo, s34
	s_cbranch_vccz .LBB16_41
.LBB16_29:                              ;   in Loop: Header=BB16_21 Depth=3
	v_dual_add_nc_u32 v8, s33, v12 :: v_dual_mov_b32 v10, v23
	s_and_not1_b32 s35, s35, exec_lo
	s_delay_alu instid0(VALU_DEP_1) | instskip(SKIP_1) | instid1(SALU_CYCLE_1)
	v_cmp_gt_i32_e32 vcc_lo, s18, v8
	s_and_b32 s34, s1, vcc_lo
	s_and_b32 s34, s34, exec_lo
	s_delay_alu instid0(SALU_CYCLE_1)
	s_or_b32 s35, s35, s34
	v_mov_b32_e32 v9, 0
	s_and_saveexec_b32 s34, s35
	s_cbranch_execz .LBB16_20
	s_branch .LBB16_42
.LBB16_30:                              ;   in Loop: Header=BB16_21 Depth=3
	v_mov_b32_e32 v8, 0
	s_and_saveexec_b32 s34, s0
	s_cbranch_execz .LBB16_34
; %bb.31:                               ;   in Loop: Header=BB16_21 Depth=3
	v_add_nc_u32_e32 v8, s33, v13
	s_delay_alu instid0(VALU_DEP_1)
	v_cmp_gt_i32_e32 vcc_lo, s18, v8
	v_mov_b32_e32 v8, 0
	s_and_saveexec_b32 s35, vcc_lo
	s_cbranch_execz .LBB16_33
; %bb.32:                               ;   in Loop: Header=BB16_21 Depth=3
	v_add_nc_u32_e32 v10, s33, v24
	s_delay_alu instid0(VALU_DEP_1) | instskip(NEXT) | instid1(VALU_DEP_1)
	v_mad_nc_u64_u32 v[8:9], s10, v10, v[0:1]
	v_mad_u32 v9, s11, v10, v9
	v_ashrrev_i32_e32 v10, 31, v10
	s_delay_alu instid0(VALU_DEP_1)
	v_mad_u32 v9, s10, v10, v9
	global_load_i8 v8, v[8:9], off
.LBB16_33:                              ;   in Loop: Header=BB16_21 Depth=3
	s_wait_xcnt 0x0
	s_or_b32 exec_lo, exec_lo, s35
.LBB16_34:                              ;   in Loop: Header=BB16_21 Depth=3
	s_delay_alu instid0(SALU_CYCLE_1)
	s_or_b32 exec_lo, exec_lo, s34
	s_cbranch_execnz .LBB16_23
.LBB16_35:                              ;   in Loop: Header=BB16_21 Depth=3
	s_wait_loadcnt 0x0
	v_mov_b32_e32 v8, 0
	s_and_saveexec_b32 s34, s0
	s_cbranch_execz .LBB16_39
; %bb.36:                               ;   in Loop: Header=BB16_21 Depth=3
	v_add_nc_u32_e32 v8, s33, v13
	s_delay_alu instid0(VALU_DEP_1)
	v_cmp_gt_i32_e32 vcc_lo, s18, v8
	v_mov_b32_e32 v8, 0
	s_and_saveexec_b32 s35, vcc_lo
	s_cbranch_execz .LBB16_38
; %bb.37:                               ;   in Loop: Header=BB16_21 Depth=3
	v_add_nc_u32_e32 v8, s33, v24
	s_delay_alu instid0(VALU_DEP_1) | instskip(NEXT) | instid1(VALU_DEP_1)
	v_ashrrev_i32_e32 v9, 31, v8
	v_add_nc_u64_e32 v[8:9], v[2:3], v[8:9]
	global_load_i8 v8, v[8:9], off
.LBB16_38:                              ;   in Loop: Header=BB16_21 Depth=3
	s_wait_xcnt 0x0
	s_or_b32 exec_lo, exec_lo, s35
.LBB16_39:                              ;   in Loop: Header=BB16_21 Depth=3
	s_delay_alu instid0(SALU_CYCLE_1) | instskip(NEXT) | instid1(SALU_CYCLE_1)
	s_or_b32 exec_lo, exec_lo, s34
	s_and_b32 vcc_lo, exec_lo, s17
	s_wait_loadcnt 0x0
	ds_store_b32 v19, v8
	s_cbranch_vccnz .LBB16_24
.LBB16_40:                              ;   in Loop: Header=BB16_21 Depth=3
	s_mov_b32 s35, 0
                                        ; implicit-def: $vgpr8
	s_cbranch_execnz .LBB16_29
.LBB16_41:                              ;   in Loop: Header=BB16_21 Depth=3
	v_dual_mov_b32 v10, v21 :: v_dual_mov_b32 v9, 0
	s_and_saveexec_b32 s34, s35
	s_cbranch_execz .LBB16_20
.LBB16_42:                              ;   in Loop: Header=BB16_21 Depth=3
	s_delay_alu instid0(VALU_DEP_1) | instskip(NEXT) | instid1(VALU_DEP_1)
	v_dual_ashrrev_i32 v11, 31, v10 :: v_dual_ashrrev_i32 v9, 31, v8
	v_add_nc_u64_e32 v[10:11], s[8:9], v[10:11]
	s_delay_alu instid0(VALU_DEP_1)
	v_add_nc_u64_e32 v[8:9], v[10:11], v[8:9]
	global_load_i8 v9, v[8:9], off
	s_branch .LBB16_20
.LBB16_43:                              ;   in Loop: Header=BB16_16 Depth=1
	v_cmp_gt_i32_e32 vcc_lo, s18, v21
	s_and_b32 s4, s19, vcc_lo
	s_delay_alu instid0(SALU_CYCLE_1)
	s_and_saveexec_b32 s1, s4
	s_cbranch_execz .LBB16_15
; %bb.44:                               ;   in Loop: Header=BB16_16 Depth=1
	v_add_nc_u32_e32 v8, s28, v21
	s_and_b32 vcc_lo, exec_lo, s30
	s_delay_alu instid0(VALU_DEP_1)
	v_ashrrev_i32_e32 v9, 31, v8
	s_cbranch_vccz .LBB16_50
; %bb.45:                               ;   in Loop: Header=BB16_16 Depth=1
	s_and_b32 vcc_lo, exec_lo, s20
	s_mov_b32 s4, -1
	s_cbranch_vccz .LBB16_47
; %bb.46:                               ;   in Loop: Header=BB16_16 Depth=1
	v_mul_u64_e32 v[10:11], s[6:7], v[8:9]
	v_mul_lo_u32 v23, v22, s26
	s_mov_b32 s4, 0
	s_delay_alu instid0(VALU_DEP_2)
	v_lshl_add_u64 v[10:11], v[10:11], 2, v[4:5]
	global_load_b32 v21, v[10:11], off
	s_wait_loadcnt 0x0
	v_mad_u32 v21, v21, s27, v23
	global_store_b32 v[10:11], v21, off
.LBB16_47:                              ;   in Loop: Header=BB16_16 Depth=1
	s_and_not1_b32 vcc_lo, exec_lo, s4
	s_cbranch_vccnz .LBB16_49
; %bb.48:                               ;   in Loop: Header=BB16_16 Depth=1
	s_wait_xcnt 0x0
	v_lshl_add_u64 v[10:11], v[8:9], 2, v[6:7]
	v_mul_lo_u32 v23, v22, s26
	global_load_b32 v21, v[10:11], off
	s_wait_loadcnt 0x0
	v_mad_u32 v21, v21, s27, v23
	global_store_b32 v[10:11], v21, off
.LBB16_49:                              ;   in Loop: Header=BB16_16 Depth=1
	s_cbranch_execnz .LBB16_15
	s_branch .LBB16_51
.LBB16_50:                              ;   in Loop: Header=BB16_16 Depth=1
.LBB16_51:                              ;   in Loop: Header=BB16_16 Depth=1
	s_wait_xcnt 0x0
	v_mul_lo_u32 v10, v22, s26
	s_and_b32 vcc_lo, exec_lo, s20
	s_mov_b32 s4, -1
	s_cbranch_vccz .LBB16_53
; %bb.52:                               ;   in Loop: Header=BB16_16 Depth=1
	v_mul_u64_e32 v[22:23], s[6:7], v[8:9]
	s_mov_b32 s4, 0
	s_delay_alu instid0(VALU_DEP_1)
	v_lshl_add_u64 v[22:23], v[22:23], 2, v[4:5]
	global_store_b32 v[22:23], v10, off
.LBB16_53:                              ;   in Loop: Header=BB16_16 Depth=1
	s_and_not1_b32 vcc_lo, exec_lo, s4
	s_cbranch_vccnz .LBB16_15
; %bb.54:                               ;   in Loop: Header=BB16_16 Depth=1
	v_lshl_add_u64 v[8:9], v[8:9], 2, v[6:7]
	global_store_b32 v[8:9], v10, off
	s_branch .LBB16_15
.LBB16_55:
	s_endpgm
	.section	.rodata,"a",@progbits
	.p2align	6, 0x0
	.amdhsa_kernel _ZN9rocsparseL29bsrmm_general_blockdim_kernelILj32ELj32EliaaiiEEvb20rocsparse_direction_T2_S2_llNS_24const_host_device_scalarIT6_EEPKT1_PKS2_PKT3_S2_PKT4_llS5_PT5_ll16rocsparse_order_21rocsparse_index_base_b
		.amdhsa_group_segment_fixed_size 8192
		.amdhsa_private_segment_fixed_size 0
		.amdhsa_kernarg_size 140
		.amdhsa_user_sgpr_count 2
		.amdhsa_user_sgpr_dispatch_ptr 0
		.amdhsa_user_sgpr_queue_ptr 0
		.amdhsa_user_sgpr_kernarg_segment_ptr 1
		.amdhsa_user_sgpr_dispatch_id 0
		.amdhsa_user_sgpr_kernarg_preload_length 0
		.amdhsa_user_sgpr_kernarg_preload_offset 0
		.amdhsa_user_sgpr_private_segment_size 0
		.amdhsa_wavefront_size32 1
		.amdhsa_uses_dynamic_stack 0
		.amdhsa_enable_private_segment 0
		.amdhsa_system_sgpr_workgroup_id_x 1
		.amdhsa_system_sgpr_workgroup_id_y 1
		.amdhsa_system_sgpr_workgroup_id_z 0
		.amdhsa_system_sgpr_workgroup_info 0
		.amdhsa_system_vgpr_workitem_id 1
		.amdhsa_next_free_vgpr 34
		.amdhsa_next_free_sgpr 38
		.amdhsa_named_barrier_count 0
		.amdhsa_reserve_vcc 1
		.amdhsa_float_round_mode_32 0
		.amdhsa_float_round_mode_16_64 0
		.amdhsa_float_denorm_mode_32 3
		.amdhsa_float_denorm_mode_16_64 3
		.amdhsa_fp16_overflow 0
		.amdhsa_memory_ordered 1
		.amdhsa_forward_progress 1
		.amdhsa_inst_pref_size 17
		.amdhsa_round_robin_scheduling 0
		.amdhsa_exception_fp_ieee_invalid_op 0
		.amdhsa_exception_fp_denorm_src 0
		.amdhsa_exception_fp_ieee_div_zero 0
		.amdhsa_exception_fp_ieee_overflow 0
		.amdhsa_exception_fp_ieee_underflow 0
		.amdhsa_exception_fp_ieee_inexact 0
		.amdhsa_exception_int_div_zero 0
	.end_amdhsa_kernel
	.section	.text._ZN9rocsparseL29bsrmm_general_blockdim_kernelILj32ELj32EliaaiiEEvb20rocsparse_direction_T2_S2_llNS_24const_host_device_scalarIT6_EEPKT1_PKS2_PKT3_S2_PKT4_llS5_PT5_ll16rocsparse_order_21rocsparse_index_base_b,"axG",@progbits,_ZN9rocsparseL29bsrmm_general_blockdim_kernelILj32ELj32EliaaiiEEvb20rocsparse_direction_T2_S2_llNS_24const_host_device_scalarIT6_EEPKT1_PKS2_PKT3_S2_PKT4_llS5_PT5_ll16rocsparse_order_21rocsparse_index_base_b,comdat
.Lfunc_end16:
	.size	_ZN9rocsparseL29bsrmm_general_blockdim_kernelILj32ELj32EliaaiiEEvb20rocsparse_direction_T2_S2_llNS_24const_host_device_scalarIT6_EEPKT1_PKS2_PKT3_S2_PKT4_llS5_PT5_ll16rocsparse_order_21rocsparse_index_base_b, .Lfunc_end16-_ZN9rocsparseL29bsrmm_general_blockdim_kernelILj32ELj32EliaaiiEEvb20rocsparse_direction_T2_S2_llNS_24const_host_device_scalarIT6_EEPKT1_PKS2_PKT3_S2_PKT4_llS5_PT5_ll16rocsparse_order_21rocsparse_index_base_b
                                        ; -- End function
	.set _ZN9rocsparseL29bsrmm_general_blockdim_kernelILj32ELj32EliaaiiEEvb20rocsparse_direction_T2_S2_llNS_24const_host_device_scalarIT6_EEPKT1_PKS2_PKT3_S2_PKT4_llS5_PT5_ll16rocsparse_order_21rocsparse_index_base_b.num_vgpr, 34
	.set _ZN9rocsparseL29bsrmm_general_blockdim_kernelILj32ELj32EliaaiiEEvb20rocsparse_direction_T2_S2_llNS_24const_host_device_scalarIT6_EEPKT1_PKS2_PKT3_S2_PKT4_llS5_PT5_ll16rocsparse_order_21rocsparse_index_base_b.num_agpr, 0
	.set _ZN9rocsparseL29bsrmm_general_blockdim_kernelILj32ELj32EliaaiiEEvb20rocsparse_direction_T2_S2_llNS_24const_host_device_scalarIT6_EEPKT1_PKS2_PKT3_S2_PKT4_llS5_PT5_ll16rocsparse_order_21rocsparse_index_base_b.numbered_sgpr, 38
	.set _ZN9rocsparseL29bsrmm_general_blockdim_kernelILj32ELj32EliaaiiEEvb20rocsparse_direction_T2_S2_llNS_24const_host_device_scalarIT6_EEPKT1_PKS2_PKT3_S2_PKT4_llS5_PT5_ll16rocsparse_order_21rocsparse_index_base_b.num_named_barrier, 0
	.set _ZN9rocsparseL29bsrmm_general_blockdim_kernelILj32ELj32EliaaiiEEvb20rocsparse_direction_T2_S2_llNS_24const_host_device_scalarIT6_EEPKT1_PKS2_PKT3_S2_PKT4_llS5_PT5_ll16rocsparse_order_21rocsparse_index_base_b.private_seg_size, 0
	.set _ZN9rocsparseL29bsrmm_general_blockdim_kernelILj32ELj32EliaaiiEEvb20rocsparse_direction_T2_S2_llNS_24const_host_device_scalarIT6_EEPKT1_PKS2_PKT3_S2_PKT4_llS5_PT5_ll16rocsparse_order_21rocsparse_index_base_b.uses_vcc, 1
	.set _ZN9rocsparseL29bsrmm_general_blockdim_kernelILj32ELj32EliaaiiEEvb20rocsparse_direction_T2_S2_llNS_24const_host_device_scalarIT6_EEPKT1_PKS2_PKT3_S2_PKT4_llS5_PT5_ll16rocsparse_order_21rocsparse_index_base_b.uses_flat_scratch, 0
	.set _ZN9rocsparseL29bsrmm_general_blockdim_kernelILj32ELj32EliaaiiEEvb20rocsparse_direction_T2_S2_llNS_24const_host_device_scalarIT6_EEPKT1_PKS2_PKT3_S2_PKT4_llS5_PT5_ll16rocsparse_order_21rocsparse_index_base_b.has_dyn_sized_stack, 0
	.set _ZN9rocsparseL29bsrmm_general_blockdim_kernelILj32ELj32EliaaiiEEvb20rocsparse_direction_T2_S2_llNS_24const_host_device_scalarIT6_EEPKT1_PKS2_PKT3_S2_PKT4_llS5_PT5_ll16rocsparse_order_21rocsparse_index_base_b.has_recursion, 0
	.set _ZN9rocsparseL29bsrmm_general_blockdim_kernelILj32ELj32EliaaiiEEvb20rocsparse_direction_T2_S2_llNS_24const_host_device_scalarIT6_EEPKT1_PKS2_PKT3_S2_PKT4_llS5_PT5_ll16rocsparse_order_21rocsparse_index_base_b.has_indirect_call, 0
	.section	.AMDGPU.csdata,"",@progbits
; Kernel info:
; codeLenInByte = 2164
; TotalNumSgprs: 40
; NumVgprs: 34
; ScratchSize: 0
; MemoryBound: 0
; FloatMode: 240
; IeeeMode: 1
; LDSByteSize: 8192 bytes/workgroup (compile time only)
; SGPRBlocks: 0
; VGPRBlocks: 2
; NumSGPRsForWavesPerEU: 40
; NumVGPRsForWavesPerEU: 34
; NamedBarCnt: 0
; Occupancy: 16
; WaveLimiterHint : 1
; COMPUTE_PGM_RSRC2:SCRATCH_EN: 0
; COMPUTE_PGM_RSRC2:USER_SGPR: 2
; COMPUTE_PGM_RSRC2:TRAP_HANDLER: 0
; COMPUTE_PGM_RSRC2:TGID_X_EN: 1
; COMPUTE_PGM_RSRC2:TGID_Y_EN: 1
; COMPUTE_PGM_RSRC2:TGID_Z_EN: 0
; COMPUTE_PGM_RSRC2:TIDIG_COMP_CNT: 1
	.section	.text._ZN9rocsparseL29bsrmm_general_blockdim_kernelILj32ELj32EllaaiiEEvb20rocsparse_direction_T2_S2_llNS_24const_host_device_scalarIT6_EEPKT1_PKS2_PKT3_S2_PKT4_llS5_PT5_ll16rocsparse_order_21rocsparse_index_base_b,"axG",@progbits,_ZN9rocsparseL29bsrmm_general_blockdim_kernelILj32ELj32EllaaiiEEvb20rocsparse_direction_T2_S2_llNS_24const_host_device_scalarIT6_EEPKT1_PKS2_PKT3_S2_PKT4_llS5_PT5_ll16rocsparse_order_21rocsparse_index_base_b,comdat
	.globl	_ZN9rocsparseL29bsrmm_general_blockdim_kernelILj32ELj32EllaaiiEEvb20rocsparse_direction_T2_S2_llNS_24const_host_device_scalarIT6_EEPKT1_PKS2_PKT3_S2_PKT4_llS5_PT5_ll16rocsparse_order_21rocsparse_index_base_b ; -- Begin function _ZN9rocsparseL29bsrmm_general_blockdim_kernelILj32ELj32EllaaiiEEvb20rocsparse_direction_T2_S2_llNS_24const_host_device_scalarIT6_EEPKT1_PKS2_PKT3_S2_PKT4_llS5_PT5_ll16rocsparse_order_21rocsparse_index_base_b
	.p2align	8
	.type	_ZN9rocsparseL29bsrmm_general_blockdim_kernelILj32ELj32EllaaiiEEvb20rocsparse_direction_T2_S2_llNS_24const_host_device_scalarIT6_EEPKT1_PKS2_PKT3_S2_PKT4_llS5_PT5_ll16rocsparse_order_21rocsparse_index_base_b,@function
_ZN9rocsparseL29bsrmm_general_blockdim_kernelILj32ELj32EllaaiiEEvb20rocsparse_direction_T2_S2_llNS_24const_host_device_scalarIT6_EEPKT1_PKS2_PKT3_S2_PKT4_llS5_PT5_ll16rocsparse_order_21rocsparse_index_base_b: ; @_ZN9rocsparseL29bsrmm_general_blockdim_kernelILj32ELj32EllaaiiEEvb20rocsparse_direction_T2_S2_llNS_24const_host_device_scalarIT6_EEPKT1_PKS2_PKT3_S2_PKT4_llS5_PT5_ll16rocsparse_order_21rocsparse_index_base_b
; %bb.0:
	s_clause 0x1
	s_load_b96 s[16:18], s[0:1], 0x88
	s_load_b64 s[4:5], s[0:1], 0x28
	s_mov_b32 s7, -1
                                        ; implicit-def: $sgpr33
	s_wait_kmcnt 0x0
	s_bitcmp1_b32 s18, 0
	s_cselect_b32 s2, -1, 0
	s_delay_alu instid0(SALU_CYCLE_1) | instskip(NEXT) | instid1(SALU_CYCLE_1)
	s_xor_b32 s6, s2, -1
	s_and_b32 vcc_lo, exec_lo, s6
	s_cbranch_vccnz .LBB17_4
; %bb.1:
	s_load_b64 s[2:3], s[0:1], 0x68
	s_and_not1_b32 vcc_lo, exec_lo, s7
	s_cbranch_vccz .LBB17_5
.LBB17_2:
	s_and_b32 vcc_lo, exec_lo, s6
	s_cbranch_vccz .LBB17_6
.LBB17_3:
	s_wait_kmcnt 0x0
	s_load_b32 s34, s[2:3], 0x0
	s_wait_xcnt 0x0
	s_cbranch_execz .LBB17_7
	s_branch .LBB17_8
.LBB17_4:
	s_load_b32 s33, s[4:5], 0x0
	s_load_b64 s[2:3], s[0:1], 0x68
	s_cbranch_execnz .LBB17_2
.LBB17_5:
	s_wait_kmcnt 0x0
	s_mov_b32 s33, s4
	s_and_b32 vcc_lo, exec_lo, s6
	s_cbranch_vccnz .LBB17_3
.LBB17_6:
	s_wait_kmcnt 0x0
                                        ; implicit-def: $sgpr34
.LBB17_7:
	s_wait_kmcnt 0x0
	s_mov_b32 s34, s2
.LBB17_8:
	s_cmp_eq_u32 s33, 0
	s_cselect_b32 s2, -1, 0
	s_wait_kmcnt 0x0
	s_cmp_eq_u32 s34, 1
	s_cselect_b32 s3, -1, 0
	s_delay_alu instid0(SALU_CYCLE_1) | instskip(NEXT) | instid1(SALU_CYCLE_1)
	s_and_b32 s2, s2, s3
	s_and_b32 vcc_lo, exec_lo, s2
	s_cbranch_vccnz .LBB17_57
; %bb.9:
	s_clause 0x1
	s_load_b128 s[12:15], s[0:1], 0x8
	s_load_b64 s[2:3], s[0:1], 0x30
	s_bfe_u32 s4, ttmp6, 0x4000c
	s_and_b32 s5, ttmp6, 15
	s_add_co_i32 s4, s4, 1
	s_getreg_b32 s8, hwreg(HW_REG_IB_STS2, 6, 4)
	s_mul_i32 s4, ttmp9, s4
	s_mov_b64 s[18:19], 0
	s_add_co_i32 s5, s5, s4
	s_cmp_eq_u32 s8, 0
	s_mov_b64 s[20:21], 0
	s_cselect_b32 s24, ttmp9, s5
	s_delay_alu instid0(SALU_CYCLE_1)
	s_ashr_i32 s25, s24, 31
	s_wait_kmcnt 0x0
	v_cmp_le_i64_e64 s4, s[12:13], s[24:25]
	v_cmp_gt_i64_e64 s12, s[12:13], s[24:25]
	s_and_b32 vcc_lo, exec_lo, s4
	s_cbranch_vccz .LBB17_12
; %bb.10:
	s_and_not1_b32 vcc_lo, exec_lo, s12
	s_cbranch_vccz .LBB17_13
.LBB17_11:
	s_load_b64 s[22:23], s[0:1], 0x48
	s_wait_kmcnt 0x0
	v_cmp_lt_i64_e64 s2, s[22:23], 1
	s_and_b32 vcc_lo, exec_lo, s2
	s_cbranch_vccz .LBB17_14
	s_branch .LBB17_57
.LBB17_12:
	s_lshl_b64 s[4:5], s[24:25], 3
	s_mov_b32 s7, 0
	s_add_nc_u64 s[4:5], s[2:3], s[4:5]
	s_mov_b32 s6, s17
	s_load_b64 s[4:5], s[4:5], 0x0
	s_wait_kmcnt 0x0
	s_sub_nc_u64 s[20:21], s[4:5], s[6:7]
	s_and_not1_b32 vcc_lo, exec_lo, s12
	s_cbranch_vccnz .LBB17_11
.LBB17_13:
	s_lshl_b64 s[4:5], s[24:25], 3
	s_delay_alu instid0(SALU_CYCLE_1)
	s_add_nc_u64 s[2:3], s[2:3], s[4:5]
	s_mov_b32 s5, 0
	s_load_b64 s[2:3], s[2:3], 0x8
	s_mov_b32 s4, s17
	s_wait_kmcnt 0x0
	s_sub_nc_u64 s[18:19], s[2:3], s[4:5]
	s_load_b64 s[22:23], s[0:1], 0x48
	s_wait_kmcnt 0x0
	v_cmp_lt_i64_e64 s2, s[22:23], 1
	s_and_b32 vcc_lo, exec_lo, s2
	s_cbranch_vccnz .LBB17_57
.LBB17_14:
	s_load_b64 s[26:27], s[0:1], 0x0
	s_bfe_u32 s2, ttmp6, 0x40010
	s_bfe_u32 s3, ttmp6, 0x40004
	s_add_co_i32 s2, s2, 1
	v_bfe_u32 v2, v0, 10, 10
	s_mul_i32 s2, ttmp7, s2
	v_mov_b32_e32 v11, 0
	s_add_co_i32 s3, s3, s2
	s_cmp_eq_u32 s8, 0
	v_and_b32_e32 v0, 0x3ff, v0
	s_cselect_b32 s2, ttmp7, s3
	v_mov_b32_e32 v1, v11
	v_lshl_add_u32 v10, s2, 5, v2
	s_load_b128 s[8:11], s[0:1], 0x50
	s_mov_b64 s[28:29], 0xffffffff
	s_load_b128 s[4:7], s[0:1], 0x70
	v_mad_nc_u64_u32 v[6:7], s20, s22, v[0:1]
	v_cmp_gt_i64_e64 s2, s[14:15], v[10:11]
	v_lshlrev_b32_e32 v31, 7, v2
	v_cmp_lt_i64_e64 s38, s[20:21], s[18:19]
	s_wait_kmcnt 0x0
	s_bitcmp1_b32 s26, 0
	v_lshlrev_b32_e32 v30, 2, v0
	s_cselect_b32 s3, -1, 0
	s_and_b64 s[28:29], s[24:25], s[28:29]
	s_xor_b32 s3, s3, -1
	s_cmp_lg_u32 s27, 0
	s_mov_b32 s25, 0
	s_cselect_b32 s35, -1, 0
	s_and_b32 s36, s12, s2
	s_cmp_lg_u32 s34, 0
	s_load_b128 s[12:15], s[0:1], 0x38
	s_wait_xcnt 0x0
	s_cselect_b32 s1, -1, 0
	s_cmp_lg_u32 s16, 1
	s_mul_i32 s0, s21, s22
	s_mul_i32 s16, s20, s23
	s_cselect_b32 s37, -1, 0
	s_add_co_i32 s16, s16, s0
	v_mad_nc_u64_u32 v[4:5], s10, v10, s[8:9]
	v_dual_add_nc_u32 v7, s16, v7 :: v_dual_mov_b32 v3, v11
	v_mul_u64_e32 v[12:13], s[6:7], v[10:11]
	s_mul_u64 s[26:27], s[22:23], s[28:29]
	s_mov_b32 s24, s17
	v_or_b32_e32 v18, 0x1000, v30
	v_mad_nc_u64_u32 v[8:9], s20, s22, v[2:3]
	v_mad_nc_u64_u32 v[14:15], s22, v6, v[2:3]
	v_add_nc_u32_e32 v33, v30, v31
	v_add_nc_u32_e32 v34, 0x400, v30
	v_mad_u32 v5, s11, v10, v5
	v_add_nc_u32_e32 v35, 0x800, v30
	v_add_nc_u32_e32 v36, 0xc00, v30
	;; [unrolled: 1-line block ×3, first 2 shown]
	v_mad_nc_u64_u32 v[16:17], s22, v8, v[0:1]
	v_mad_u32 v6, s23, v6, v15
	v_add_nc_u32_e32 v9, s16, v9
	s_mov_b64 s[16:17], 0
	s_delay_alu instid0(VALU_DEP_3) | instskip(NEXT) | instid1(VALU_DEP_3)
	v_mad_u32 v8, s23, v8, v17
	v_mad_u32 v15, s22, v7, v6
	v_lshl_add_u64 v[6:7], v[10:11], 2, s[4:5]
	v_add_nc_u64_e32 v[10:11], s[8:9], v[10:11]
	s_lshl_b64 s[8:9], s[22:23], 5
	s_delay_alu instid0(VALU_DEP_4) | instskip(SKIP_4) | instid1(VALU_DEP_3)
	v_mad_u32 v17, s22, v9, v8
	v_lshl_add_u64 v[8:9], v[12:13], 2, s[4:5]
	s_wait_kmcnt 0x0
	v_add_nc_u64_e32 v[12:13], s[14:15], v[14:15]
	s_lshl_b64 s[4:5], s[10:11], 5
	v_add_nc_u64_e32 v[14:15], s[14:15], v[16:17]
	s_mul_u64 s[14:15], s[22:23], s[22:23]
	s_branch .LBB17_16
.LBB17_15:                              ;   in Loop: Header=BB17_16 Depth=1
	s_wait_xcnt 0x0
	s_or_b32 exec_lo, exec_lo, s0
	s_add_nc_u64 s[16:17], s[16:17], 32
	v_add_nc_u64_e32 v[12:13], s[8:9], v[12:13]
	v_cmp_lt_i64_e64 s0, s[16:17], s[22:23]
	v_add_nc_u64_e32 v[14:15], 32, v[14:15]
	s_and_b32 vcc_lo, exec_lo, s0
	s_cbranch_vccz .LBB17_57
.LBB17_16:                              ; =>This Loop Header: Depth=1
                                        ;     Child Loop BB17_19 Depth 2
                                        ;       Child Loop BB17_23 Depth 3
	v_add_nc_u64_e32 v[16:17], s[16:17], v[0:1]
	v_mov_b32_e32 v37, 0
	s_and_not1_b32 vcc_lo, exec_lo, s38
	s_delay_alu instid0(VALU_DEP_2)
	v_cmp_gt_i64_e64 s0, s[22:23], v[16:17]
	s_cbranch_vccnz .LBB17_45
; %bb.17:                               ;   in Loop: Header=BB17_16 Depth=1
	v_mov_b64_e32 v[18:19], v[14:15]
	v_mov_b64_e32 v[20:21], v[12:13]
	v_mov_b32_e32 v37, 0
	s_mov_b64 s[28:29], s[20:21]
	s_branch .LBB17_19
.LBB17_18:                              ;   in Loop: Header=BB17_19 Depth=2
	s_add_nc_u64 s[28:29], s[28:29], 1
	v_add_nc_u64_e32 v[20:21], s[14:15], v[20:21]
	v_cmp_ge_i64_e64 s30, s[28:29], s[18:19]
	v_add_nc_u64_e32 v[18:19], s[14:15], v[18:19]
	s_and_b32 vcc_lo, exec_lo, s30
	s_cbranch_vccnz .LBB17_45
.LBB17_19:                              ;   Parent Loop BB17_16 Depth=1
                                        ; =>  This Loop Header: Depth=2
                                        ;       Child Loop BB17_23 Depth 3
	s_lshl_b64 s[30:31], s[28:29], 3
	v_mov_b64_e32 v[28:29], v[0:1]
	s_add_nc_u64 s[30:31], s[12:13], s[30:31]
	s_load_b64 s[30:31], s[30:31], 0x0
	s_wait_kmcnt 0x0
	s_wait_xcnt 0x0
	s_sub_nc_u64 s[30:31], s[30:31], s[24:25]
	s_delay_alu instid0(SALU_CYCLE_1) | instskip(SKIP_3) | instid1(SALU_CYCLE_1)
	v_mad_nc_u64_u32 v[26:27], s30, s22, v[0:1]
	v_mad_nc_u64_u32 v[24:25], s30, s22, v[4:5]
	s_mul_i32 s31, s31, s22
	s_mul_i32 s39, s30, s23
	s_add_co_i32 s39, s39, s31
	s_mov_b64 s[30:31], 0
	s_delay_alu instid0(VALU_DEP_2) | instskip(NEXT) | instid1(VALU_DEP_2)
	v_mad_nc_u64_u32 v[22:23], s10, v26, v[10:11]
	v_add_nc_u32_e32 v25, s39, v25
	s_delay_alu instid0(VALU_DEP_2) | instskip(SKIP_1) | instid1(VALU_DEP_1)
	v_mad_u32 v23, s11, v26, v23
	v_add_nc_u32_e32 v26, s39, v27
	v_mad_u32 v23, s10, v26, v23
	v_mov_b64_e32 v[26:27], v[18:19]
	s_branch .LBB17_23
.LBB17_20:                              ;   in Loop: Header=BB17_23 Depth=3
	s_wait_xcnt 0x0
	s_or_b32 exec_lo, exec_lo, s40
.LBB17_21:                              ;   in Loop: Header=BB17_23 Depth=3
	s_delay_alu instid0(SALU_CYCLE_1)
	s_or_b32 exec_lo, exec_lo, s39
.LBB17_22:                              ;   in Loop: Header=BB17_23 Depth=3
	s_wait_loadcnt 0x0
	ds_store_b32 v33, v38
	s_wait_dscnt 0x0
	s_barrier_signal -1
	s_barrier_wait -1
	ds_load_2addr_b32 v[46:47], v30 offset1:32
	ds_load_b128 v[38:41], v31 offset:4096
	ds_load_b128 v[42:45], v31 offset:4112
	ds_load_2addr_b32 v[48:49], v30 offset0:64 offset1:96
	s_add_nc_u64 s[30:31], s[30:31], 32
	v_add_nc_u64_e32 v[28:29], 32, v[28:29]
	v_cmp_ge_i64_e64 s39, s[30:31], s[22:23]
	v_add_nc_u64_e32 v[22:23], s[4:5], v[22:23]
	v_add_nc_u64_e32 v[26:27], s[8:9], v[26:27]
	s_and_b32 vcc_lo, exec_lo, s39
	s_wait_dscnt 0x2
	v_mad_u32 v37, v38, v46, v37
	s_delay_alu instid0(VALU_DEP_1) | instskip(SKIP_4) | instid1(VALU_DEP_1)
	v_mad_u32 v37, v39, v47, v37
	ds_load_2addr_b32 v[38:39], v30 offset0:128 offset1:160
	ds_load_2addr_b32 v[46:47], v30 offset0:192 offset1:224
	s_wait_dscnt 0x2
	v_mad_u32 v37, v40, v48, v37
	v_mad_u32 v37, v41, v49, v37
	s_wait_dscnt 0x1
	s_delay_alu instid0(VALU_DEP_1) | instskip(NEXT) | instid1(VALU_DEP_1)
	v_mad_u32 v37, v42, v38, v37
	v_mad_u32 v37, v43, v39, v37
	ds_load_b128 v[38:41], v31 offset:4128
	ds_load_2addr_b32 v[48:49], v34 offset1:32
	s_wait_dscnt 0x2
	v_mad_u32 v37, v44, v46, v37
	s_delay_alu instid0(VALU_DEP_1) | instskip(SKIP_4) | instid1(VALU_DEP_1)
	v_mad_u32 v37, v45, v47, v37
	ds_load_2addr_b32 v[46:47], v34 offset0:64 offset1:96
	ds_load_b128 v[42:45], v31 offset:4144
	s_wait_dscnt 0x2
	v_mad_u32 v37, v38, v48, v37
	v_mad_u32 v37, v39, v49, v37
	ds_load_2addr_b32 v[38:39], v34 offset0:128 offset1:160
	s_wait_dscnt 0x2
	v_mad_u32 v37, v40, v46, v37
	s_delay_alu instid0(VALU_DEP_1) | instskip(SKIP_3) | instid1(VALU_DEP_1)
	v_mad_u32 v37, v41, v47, v37
	ds_load_2addr_b32 v[46:47], v34 offset0:192 offset1:224
	s_wait_dscnt 0x1
	v_mad_u32 v37, v42, v38, v37
	v_mad_u32 v37, v43, v39, v37
	ds_load_2addr_b32 v[48:49], v35 offset1:32
	ds_load_b128 v[38:41], v31 offset:4160
	s_wait_dscnt 0x2
	v_mad_u32 v37, v44, v46, v37
	s_delay_alu instid0(VALU_DEP_1) | instskip(SKIP_4) | instid1(VALU_DEP_1)
	v_mad_u32 v37, v45, v47, v37
	ds_load_2addr_b32 v[46:47], v35 offset0:64 offset1:96
	ds_load_b128 v[42:45], v31 offset:4176
	s_wait_dscnt 0x2
	v_mad_u32 v37, v38, v48, v37
	v_mad_u32 v37, v39, v49, v37
	ds_load_2addr_b32 v[38:39], v35 offset0:128 offset1:160
	s_wait_dscnt 0x2
	v_mad_u32 v37, v40, v46, v37
	s_delay_alu instid0(VALU_DEP_1) | instskip(SKIP_3) | instid1(VALU_DEP_1)
	v_mad_u32 v37, v41, v47, v37
	ds_load_2addr_b32 v[46:47], v35 offset0:192 offset1:224
	s_wait_dscnt 0x1
	v_mad_u32 v37, v42, v38, v37
	v_mad_u32 v37, v43, v39, v37
	ds_load_2addr_b32 v[48:49], v36 offset1:32
	ds_load_b128 v[38:41], v31 offset:4192
	s_wait_dscnt 0x2
	v_mad_u32 v37, v44, v46, v37
	s_delay_alu instid0(VALU_DEP_1) | instskip(SKIP_4) | instid1(VALU_DEP_1)
	v_mad_u32 v37, v45, v47, v37
	ds_load_2addr_b32 v[46:47], v36 offset0:64 offset1:96
	ds_load_b128 v[42:45], v31 offset:4208
	s_wait_dscnt 0x2
	v_mad_u32 v37, v38, v48, v37
	v_mad_u32 v37, v39, v49, v37
	ds_load_2addr_b32 v[38:39], v36 offset0:128 offset1:160
	s_wait_dscnt 0x2
	v_mad_u32 v37, v40, v46, v37
	s_delay_alu instid0(VALU_DEP_1)
	v_mad_u32 v37, v41, v47, v37
	ds_load_2addr_b32 v[40:41], v36 offset0:192 offset1:224
	s_wait_dscnt 0x0
	s_barrier_signal -1
	s_barrier_wait -1
	v_mad_u32 v37, v42, v38, v37
	s_delay_alu instid0(VALU_DEP_1) | instskip(NEXT) | instid1(VALU_DEP_1)
	v_mad_u32 v37, v43, v39, v37
	v_mad_u32 v37, v44, v40, v37
	s_delay_alu instid0(VALU_DEP_1)
	v_mad_u32 v37, v45, v41, v37
	s_cbranch_vccnz .LBB17_18
.LBB17_23:                              ;   Parent Loop BB17_16 Depth=1
                                        ;     Parent Loop BB17_19 Depth=2
                                        ; =>    This Inner Loop Header: Depth=3
	s_and_b32 vcc_lo, exec_lo, s3
	s_mov_b32 s39, -1
                                        ; implicit-def: $vgpr38
	s_cbranch_vccnz .LBB17_31
; %bb.24:                               ;   in Loop: Header=BB17_23 Depth=3
	s_and_not1_b32 vcc_lo, exec_lo, s39
	s_cbranch_vccz .LBB17_36
.LBB17_25:                              ;   in Loop: Header=BB17_23 Depth=3
	s_and_b32 vcc_lo, exec_lo, s35
	s_wait_loadcnt 0x0
	ds_store_b32 v32, v38
	s_cbranch_vccz .LBB17_41
.LBB17_26:                              ;   in Loop: Header=BB17_23 Depth=3
	v_mov_b32_e32 v38, 0
	s_and_saveexec_b32 s39, s0
	s_cbranch_execz .LBB17_30
; %bb.27:                               ;   in Loop: Header=BB17_23 Depth=3
	v_add_nc_u64_e32 v[38:39], s[30:31], v[2:3]
	s_delay_alu instid0(VALU_DEP_1)
	v_cmp_gt_i64_e32 vcc_lo, s[22:23], v[38:39]
	v_mov_b32_e32 v38, 0
	s_and_saveexec_b32 s40, vcc_lo
	s_cbranch_execz .LBB17_29
; %bb.28:                               ;   in Loop: Header=BB17_23 Depth=3
	global_load_i8 v38, v[26:27], off
.LBB17_29:                              ;   in Loop: Header=BB17_23 Depth=3
	s_wait_xcnt 0x0
	s_or_b32 exec_lo, exec_lo, s40
.LBB17_30:                              ;   in Loop: Header=BB17_23 Depth=3
	s_delay_alu instid0(SALU_CYCLE_1)
	s_or_b32 exec_lo, exec_lo, s39
	s_cbranch_execnz .LBB17_22
	s_branch .LBB17_42
.LBB17_31:                              ;   in Loop: Header=BB17_23 Depth=3
	v_mov_b32_e32 v38, 0
	s_and_saveexec_b32 s39, s2
	s_cbranch_execz .LBB17_35
; %bb.32:                               ;   in Loop: Header=BB17_23 Depth=3
	v_mov_b32_e32 v38, 0
	s_mov_b32 s40, exec_lo
	v_cmpx_gt_i64_e64 s[22:23], v[28:29]
	s_cbranch_execz .LBB17_34
; %bb.33:                               ;   in Loop: Header=BB17_23 Depth=3
	global_load_i8 v38, v[22:23], off
.LBB17_34:                              ;   in Loop: Header=BB17_23 Depth=3
	s_wait_xcnt 0x0
	s_or_b32 exec_lo, exec_lo, s40
.LBB17_35:                              ;   in Loop: Header=BB17_23 Depth=3
	s_delay_alu instid0(SALU_CYCLE_1)
	s_or_b32 exec_lo, exec_lo, s39
	s_cbranch_execnz .LBB17_25
.LBB17_36:                              ;   in Loop: Header=BB17_23 Depth=3
	s_wait_loadcnt 0x0
	v_mov_b32_e32 v38, 0
	s_and_saveexec_b32 s39, s2
	s_cbranch_execz .LBB17_40
; %bb.37:                               ;   in Loop: Header=BB17_23 Depth=3
	v_mov_b32_e32 v38, 0
	s_mov_b32 s40, exec_lo
	v_cmpx_gt_i64_e64 s[22:23], v[28:29]
	s_cbranch_execz .LBB17_39
; %bb.38:                               ;   in Loop: Header=BB17_23 Depth=3
	v_add_nc_u64_e32 v[38:39], v[24:25], v[28:29]
	global_load_i8 v38, v[38:39], off
.LBB17_39:                              ;   in Loop: Header=BB17_23 Depth=3
	s_wait_xcnt 0x0
	s_or_b32 exec_lo, exec_lo, s40
.LBB17_40:                              ;   in Loop: Header=BB17_23 Depth=3
	s_delay_alu instid0(SALU_CYCLE_1) | instskip(NEXT) | instid1(SALU_CYCLE_1)
	s_or_b32 exec_lo, exec_lo, s39
	s_and_b32 vcc_lo, exec_lo, s35
	s_wait_loadcnt 0x0
	ds_store_b32 v32, v38
	s_cbranch_vccnz .LBB17_26
.LBB17_41:                              ;   in Loop: Header=BB17_23 Depth=3
                                        ; implicit-def: $vgpr38
.LBB17_42:                              ;   in Loop: Header=BB17_23 Depth=3
	s_wait_loadcnt 0x0
	v_mov_b32_e32 v38, 0
	s_and_saveexec_b32 s39, s0
	s_cbranch_execz .LBB17_21
; %bb.43:                               ;   in Loop: Header=BB17_23 Depth=3
	v_add_nc_u64_e32 v[38:39], s[30:31], v[2:3]
	s_delay_alu instid0(VALU_DEP_1)
	v_cmp_gt_i64_e32 vcc_lo, s[22:23], v[38:39]
	v_mov_b32_e32 v38, 0
	s_and_saveexec_b32 s40, vcc_lo
	s_cbranch_execz .LBB17_20
; %bb.44:                               ;   in Loop: Header=BB17_23 Depth=3
	v_add_nc_u64_e32 v[38:39], s[30:31], v[20:21]
	global_load_i8 v38, v[38:39], off
	s_branch .LBB17_20
.LBB17_45:                              ;   in Loop: Header=BB17_16 Depth=1
	v_cmp_gt_i64_e32 vcc_lo, s[22:23], v[16:17]
	s_and_b32 s28, s36, vcc_lo
	s_delay_alu instid0(SALU_CYCLE_1)
	s_and_saveexec_b32 s0, s28
	s_cbranch_execz .LBB17_15
; %bb.46:                               ;   in Loop: Header=BB17_16 Depth=1
	v_add_nc_u64_e32 v[16:17], s[26:27], v[16:17]
	s_and_b32 vcc_lo, exec_lo, s1
	s_cbranch_vccz .LBB17_52
; %bb.47:                               ;   in Loop: Header=BB17_16 Depth=1
	s_and_b32 vcc_lo, exec_lo, s37
	s_mov_b32 s28, -1
	s_cbranch_vccz .LBB17_49
; %bb.48:                               ;   in Loop: Header=BB17_16 Depth=1
	s_delay_alu instid0(VALU_DEP_1) | instskip(SKIP_2) | instid1(VALU_DEP_2)
	v_mul_u64_e32 v[18:19], s[6:7], v[16:17]
	v_mul_lo_u32 v21, v37, s33
	s_mov_b32 s28, 0
	v_lshl_add_u64 v[18:19], v[18:19], 2, v[6:7]
	global_load_b32 v20, v[18:19], off
	s_wait_loadcnt 0x0
	v_mad_u32 v20, v20, s34, v21
	global_store_b32 v[18:19], v20, off
.LBB17_49:                              ;   in Loop: Header=BB17_16 Depth=1
	s_and_not1_b32 vcc_lo, exec_lo, s28
	s_cbranch_vccnz .LBB17_51
; %bb.50:                               ;   in Loop: Header=BB17_16 Depth=1
	s_wait_xcnt 0x0
	v_lshl_add_u64 v[18:19], v[16:17], 2, v[8:9]
	v_mul_lo_u32 v21, v37, s33
	global_load_b32 v20, v[18:19], off
	s_wait_loadcnt 0x0
	v_mad_u32 v20, v20, s34, v21
	global_store_b32 v[18:19], v20, off
.LBB17_51:                              ;   in Loop: Header=BB17_16 Depth=1
	s_cbranch_execnz .LBB17_15
	s_branch .LBB17_53
.LBB17_52:                              ;   in Loop: Header=BB17_16 Depth=1
.LBB17_53:                              ;   in Loop: Header=BB17_16 Depth=1
	s_wait_xcnt 0x0
	v_mul_lo_u32 v18, v37, s33
	s_and_b32 vcc_lo, exec_lo, s37
	s_mov_b32 s28, -1
	s_cbranch_vccz .LBB17_55
; %bb.54:                               ;   in Loop: Header=BB17_16 Depth=1
	v_mul_u64_e32 v[20:21], s[6:7], v[16:17]
	s_mov_b32 s28, 0
	s_delay_alu instid0(VALU_DEP_1)
	v_lshl_add_u64 v[20:21], v[20:21], 2, v[6:7]
	global_store_b32 v[20:21], v18, off
.LBB17_55:                              ;   in Loop: Header=BB17_16 Depth=1
	s_and_not1_b32 vcc_lo, exec_lo, s28
	s_cbranch_vccnz .LBB17_15
; %bb.56:                               ;   in Loop: Header=BB17_16 Depth=1
	v_lshl_add_u64 v[16:17], v[16:17], 2, v[8:9]
	global_store_b32 v[16:17], v18, off
	s_branch .LBB17_15
.LBB17_57:
	s_endpgm
	.section	.rodata,"a",@progbits
	.p2align	6, 0x0
	.amdhsa_kernel _ZN9rocsparseL29bsrmm_general_blockdim_kernelILj32ELj32EllaaiiEEvb20rocsparse_direction_T2_S2_llNS_24const_host_device_scalarIT6_EEPKT1_PKS2_PKT3_S2_PKT4_llS5_PT5_ll16rocsparse_order_21rocsparse_index_base_b
		.amdhsa_group_segment_fixed_size 8192
		.amdhsa_private_segment_fixed_size 0
		.amdhsa_kernarg_size 148
		.amdhsa_user_sgpr_count 2
		.amdhsa_user_sgpr_dispatch_ptr 0
		.amdhsa_user_sgpr_queue_ptr 0
		.amdhsa_user_sgpr_kernarg_segment_ptr 1
		.amdhsa_user_sgpr_dispatch_id 0
		.amdhsa_user_sgpr_kernarg_preload_length 0
		.amdhsa_user_sgpr_kernarg_preload_offset 0
		.amdhsa_user_sgpr_private_segment_size 0
		.amdhsa_wavefront_size32 1
		.amdhsa_uses_dynamic_stack 0
		.amdhsa_enable_private_segment 0
		.amdhsa_system_sgpr_workgroup_id_x 1
		.amdhsa_system_sgpr_workgroup_id_y 1
		.amdhsa_system_sgpr_workgroup_id_z 0
		.amdhsa_system_sgpr_workgroup_info 0
		.amdhsa_system_vgpr_workitem_id 1
		.amdhsa_next_free_vgpr 50
		.amdhsa_next_free_sgpr 41
		.amdhsa_named_barrier_count 0
		.amdhsa_reserve_vcc 1
		.amdhsa_float_round_mode_32 0
		.amdhsa_float_round_mode_16_64 0
		.amdhsa_float_denorm_mode_32 3
		.amdhsa_float_denorm_mode_16_64 3
		.amdhsa_fp16_overflow 0
		.amdhsa_memory_ordered 1
		.amdhsa_forward_progress 1
		.amdhsa_inst_pref_size 18
		.amdhsa_round_robin_scheduling 0
		.amdhsa_exception_fp_ieee_invalid_op 0
		.amdhsa_exception_fp_denorm_src 0
		.amdhsa_exception_fp_ieee_div_zero 0
		.amdhsa_exception_fp_ieee_overflow 0
		.amdhsa_exception_fp_ieee_underflow 0
		.amdhsa_exception_fp_ieee_inexact 0
		.amdhsa_exception_int_div_zero 0
	.end_amdhsa_kernel
	.section	.text._ZN9rocsparseL29bsrmm_general_blockdim_kernelILj32ELj32EllaaiiEEvb20rocsparse_direction_T2_S2_llNS_24const_host_device_scalarIT6_EEPKT1_PKS2_PKT3_S2_PKT4_llS5_PT5_ll16rocsparse_order_21rocsparse_index_base_b,"axG",@progbits,_ZN9rocsparseL29bsrmm_general_blockdim_kernelILj32ELj32EllaaiiEEvb20rocsparse_direction_T2_S2_llNS_24const_host_device_scalarIT6_EEPKT1_PKS2_PKT3_S2_PKT4_llS5_PT5_ll16rocsparse_order_21rocsparse_index_base_b,comdat
.Lfunc_end17:
	.size	_ZN9rocsparseL29bsrmm_general_blockdim_kernelILj32ELj32EllaaiiEEvb20rocsparse_direction_T2_S2_llNS_24const_host_device_scalarIT6_EEPKT1_PKS2_PKT3_S2_PKT4_llS5_PT5_ll16rocsparse_order_21rocsparse_index_base_b, .Lfunc_end17-_ZN9rocsparseL29bsrmm_general_blockdim_kernelILj32ELj32EllaaiiEEvb20rocsparse_direction_T2_S2_llNS_24const_host_device_scalarIT6_EEPKT1_PKS2_PKT3_S2_PKT4_llS5_PT5_ll16rocsparse_order_21rocsparse_index_base_b
                                        ; -- End function
	.set _ZN9rocsparseL29bsrmm_general_blockdim_kernelILj32ELj32EllaaiiEEvb20rocsparse_direction_T2_S2_llNS_24const_host_device_scalarIT6_EEPKT1_PKS2_PKT3_S2_PKT4_llS5_PT5_ll16rocsparse_order_21rocsparse_index_base_b.num_vgpr, 50
	.set _ZN9rocsparseL29bsrmm_general_blockdim_kernelILj32ELj32EllaaiiEEvb20rocsparse_direction_T2_S2_llNS_24const_host_device_scalarIT6_EEPKT1_PKS2_PKT3_S2_PKT4_llS5_PT5_ll16rocsparse_order_21rocsparse_index_base_b.num_agpr, 0
	.set _ZN9rocsparseL29bsrmm_general_blockdim_kernelILj32ELj32EllaaiiEEvb20rocsparse_direction_T2_S2_llNS_24const_host_device_scalarIT6_EEPKT1_PKS2_PKT3_S2_PKT4_llS5_PT5_ll16rocsparse_order_21rocsparse_index_base_b.numbered_sgpr, 41
	.set _ZN9rocsparseL29bsrmm_general_blockdim_kernelILj32ELj32EllaaiiEEvb20rocsparse_direction_T2_S2_llNS_24const_host_device_scalarIT6_EEPKT1_PKS2_PKT3_S2_PKT4_llS5_PT5_ll16rocsparse_order_21rocsparse_index_base_b.num_named_barrier, 0
	.set _ZN9rocsparseL29bsrmm_general_blockdim_kernelILj32ELj32EllaaiiEEvb20rocsparse_direction_T2_S2_llNS_24const_host_device_scalarIT6_EEPKT1_PKS2_PKT3_S2_PKT4_llS5_PT5_ll16rocsparse_order_21rocsparse_index_base_b.private_seg_size, 0
	.set _ZN9rocsparseL29bsrmm_general_blockdim_kernelILj32ELj32EllaaiiEEvb20rocsparse_direction_T2_S2_llNS_24const_host_device_scalarIT6_EEPKT1_PKS2_PKT3_S2_PKT4_llS5_PT5_ll16rocsparse_order_21rocsparse_index_base_b.uses_vcc, 1
	.set _ZN9rocsparseL29bsrmm_general_blockdim_kernelILj32ELj32EllaaiiEEvb20rocsparse_direction_T2_S2_llNS_24const_host_device_scalarIT6_EEPKT1_PKS2_PKT3_S2_PKT4_llS5_PT5_ll16rocsparse_order_21rocsparse_index_base_b.uses_flat_scratch, 0
	.set _ZN9rocsparseL29bsrmm_general_blockdim_kernelILj32ELj32EllaaiiEEvb20rocsparse_direction_T2_S2_llNS_24const_host_device_scalarIT6_EEPKT1_PKS2_PKT3_S2_PKT4_llS5_PT5_ll16rocsparse_order_21rocsparse_index_base_b.has_dyn_sized_stack, 0
	.set _ZN9rocsparseL29bsrmm_general_blockdim_kernelILj32ELj32EllaaiiEEvb20rocsparse_direction_T2_S2_llNS_24const_host_device_scalarIT6_EEPKT1_PKS2_PKT3_S2_PKT4_llS5_PT5_ll16rocsparse_order_21rocsparse_index_base_b.has_recursion, 0
	.set _ZN9rocsparseL29bsrmm_general_blockdim_kernelILj32ELj32EllaaiiEEvb20rocsparse_direction_T2_S2_llNS_24const_host_device_scalarIT6_EEPKT1_PKS2_PKT3_S2_PKT4_llS5_PT5_ll16rocsparse_order_21rocsparse_index_base_b.has_indirect_call, 0
	.section	.AMDGPU.csdata,"",@progbits
; Kernel info:
; codeLenInByte = 2288
; TotalNumSgprs: 43
; NumVgprs: 50
; ScratchSize: 0
; MemoryBound: 0
; FloatMode: 240
; IeeeMode: 1
; LDSByteSize: 8192 bytes/workgroup (compile time only)
; SGPRBlocks: 0
; VGPRBlocks: 3
; NumSGPRsForWavesPerEU: 43
; NumVGPRsForWavesPerEU: 50
; NamedBarCnt: 0
; Occupancy: 16
; WaveLimiterHint : 1
; COMPUTE_PGM_RSRC2:SCRATCH_EN: 0
; COMPUTE_PGM_RSRC2:USER_SGPR: 2
; COMPUTE_PGM_RSRC2:TRAP_HANDLER: 0
; COMPUTE_PGM_RSRC2:TGID_X_EN: 1
; COMPUTE_PGM_RSRC2:TGID_Y_EN: 1
; COMPUTE_PGM_RSRC2:TGID_Z_EN: 0
; COMPUTE_PGM_RSRC2:TIDIG_COMP_CNT: 1
	.section	.text._ZN9rocsparseL29bsrmm_general_blockdim_kernelILj32ELj32EiiaaffEEvb20rocsparse_direction_T2_S2_llNS_24const_host_device_scalarIT6_EEPKT1_PKS2_PKT3_S2_PKT4_llS5_PT5_ll16rocsparse_order_21rocsparse_index_base_b,"axG",@progbits,_ZN9rocsparseL29bsrmm_general_blockdim_kernelILj32ELj32EiiaaffEEvb20rocsparse_direction_T2_S2_llNS_24const_host_device_scalarIT6_EEPKT1_PKS2_PKT3_S2_PKT4_llS5_PT5_ll16rocsparse_order_21rocsparse_index_base_b,comdat
	.globl	_ZN9rocsparseL29bsrmm_general_blockdim_kernelILj32ELj32EiiaaffEEvb20rocsparse_direction_T2_S2_llNS_24const_host_device_scalarIT6_EEPKT1_PKS2_PKT3_S2_PKT4_llS5_PT5_ll16rocsparse_order_21rocsparse_index_base_b ; -- Begin function _ZN9rocsparseL29bsrmm_general_blockdim_kernelILj32ELj32EiiaaffEEvb20rocsparse_direction_T2_S2_llNS_24const_host_device_scalarIT6_EEPKT1_PKS2_PKT3_S2_PKT4_llS5_PT5_ll16rocsparse_order_21rocsparse_index_base_b
	.p2align	8
	.type	_ZN9rocsparseL29bsrmm_general_blockdim_kernelILj32ELj32EiiaaffEEvb20rocsparse_direction_T2_S2_llNS_24const_host_device_scalarIT6_EEPKT1_PKS2_PKT3_S2_PKT4_llS5_PT5_ll16rocsparse_order_21rocsparse_index_base_b,@function
_ZN9rocsparseL29bsrmm_general_blockdim_kernelILj32ELj32EiiaaffEEvb20rocsparse_direction_T2_S2_llNS_24const_host_device_scalarIT6_EEPKT1_PKS2_PKT3_S2_PKT4_llS5_PT5_ll16rocsparse_order_21rocsparse_index_base_b: ; @_ZN9rocsparseL29bsrmm_general_blockdim_kernelILj32ELj32EiiaaffEEvb20rocsparse_direction_T2_S2_llNS_24const_host_device_scalarIT6_EEPKT1_PKS2_PKT3_S2_PKT4_llS5_PT5_ll16rocsparse_order_21rocsparse_index_base_b
; %bb.0:
	s_clause 0x2
	s_load_b96 s[20:22], s[0:1], 0x80
	s_load_b64 s[2:3], s[0:1], 0x20
	s_load_b64 s[24:25], s[0:1], 0x60
	s_wait_kmcnt 0x0
	s_bitcmp1_b32 s22, 0
	s_cselect_b32 s4, -1, 0
	s_delay_alu instid0(SALU_CYCLE_1)
	s_and_b32 vcc_lo, exec_lo, s4
	s_xor_b32 s4, s4, -1
	s_cbranch_vccnz .LBB18_2
; %bb.1:
	s_load_b32 s2, s[2:3], 0x0
.LBB18_2:
	s_and_not1_b32 vcc_lo, exec_lo, s4
	s_cbranch_vccnz .LBB18_4
; %bb.3:
	s_load_b32 s24, s[24:25], 0x0
.LBB18_4:
	s_wait_kmcnt 0x0
	s_cmp_eq_f32 s2, 0
	s_cselect_b32 s3, -1, 0
	s_cmp_eq_f32 s24, 1.0
	s_cselect_b32 s4, -1, 0
	s_delay_alu instid0(SALU_CYCLE_1) | instskip(NEXT) | instid1(SALU_CYCLE_1)
	s_and_b32 s3, s3, s4
	s_and_b32 vcc_lo, exec_lo, s3
	s_mov_b32 s3, 0
	s_cbranch_vccnz .LBB18_55
; %bb.5:
	s_clause 0x1
	s_load_b128 s[16:19], s[0:1], 0x0
	s_load_b64 s[4:5], s[0:1], 0x28
	s_bfe_u32 s6, ttmp6, 0x4000c
	s_and_b32 s7, ttmp6, 15
	s_add_co_i32 s6, s6, 1
	s_getreg_b32 s12, hwreg(HW_REG_IB_STS2, 6, 4)
	s_mul_i32 s6, ttmp9, s6
	s_delay_alu instid0(SALU_CYCLE_1)
	s_add_co_i32 s7, s7, s6
	s_cmp_eq_u32 s12, 0
	s_cselect_b32 s22, ttmp9, s7
	s_wait_kmcnt 0x0
	s_cmp_lt_i32 s22, s18
	s_cselect_b32 s27, -1, 0
	s_cmp_ge_i32 s22, s18
	s_cbranch_scc0 .LBB18_8
; %bb.6:
	s_and_not1_b32 vcc_lo, exec_lo, s27
	s_mov_b32 s18, 0
	s_cbranch_vccz .LBB18_9
.LBB18_7:
	s_load_b32 s23, s[0:1], 0x40
	s_wait_kmcnt 0x0
	s_cmp_lt_i32 s23, 1
	s_cbranch_scc0 .LBB18_10
	s_branch .LBB18_55
.LBB18_8:
	s_ashr_i32 s23, s22, 31
	s_delay_alu instid0(SALU_CYCLE_1) | instskip(NEXT) | instid1(SALU_CYCLE_1)
	s_lshl_b64 s[6:7], s[22:23], 2
	s_add_nc_u64 s[6:7], s[4:5], s[6:7]
	s_load_b32 s3, s[6:7], 0x0
	s_wait_kmcnt 0x0
	s_sub_co_i32 s3, s3, s21
	s_and_not1_b32 vcc_lo, exec_lo, s27
	s_mov_b32 s18, 0
	s_cbranch_vccnz .LBB18_7
.LBB18_9:
	s_ashr_i32 s23, s22, 31
	s_delay_alu instid0(SALU_CYCLE_1) | instskip(NEXT) | instid1(SALU_CYCLE_1)
	s_lshl_b64 s[6:7], s[22:23], 2
	s_add_nc_u64 s[4:5], s[4:5], s[6:7]
	s_load_b32 s4, s[4:5], 0x4
	s_wait_kmcnt 0x0
	s_sub_co_i32 s18, s4, s21
	s_load_b32 s23, s[0:1], 0x40
	s_wait_kmcnt 0x0
	s_cmp_lt_i32 s23, 1
	s_cbranch_scc1 .LBB18_55
.LBB18_10:
	s_bitcmp1_b32 s16, 0
	s_load_b128 s[4:7], s[0:1], 0x68
	s_cselect_b32 s13, -1, 0
	s_bfe_u32 s14, ttmp6, 0x40010
	s_bfe_u32 s15, ttmp6, 0x40004
	s_add_co_i32 s14, s14, 1
	s_load_b128 s[8:11], s[0:1], 0x48
	s_mul_i32 s14, ttmp7, s14
	v_bfe_u32 v10, v0, 10, 10
	s_xor_b32 s16, s13, -1
	s_add_co_i32 s15, s15, s14
	s_cmp_eq_u32 s12, 0
	v_and_b32_e32 v11, 0x3ff, v0
	s_cselect_b32 s12, ttmp7, s15
	s_cmp_lt_i32 s3, s18
	v_lshl_add_u32 v4, s12, 5, v10
	s_load_b128 s[12:15], s[0:1], 0x30
	v_mad_u32 v2, s3, s23, v11
	v_dual_lshlrev_b32 v12, 2, v11 :: v_dual_lshlrev_b32 v13, 7, v10
	s_delay_alu instid0(VALU_DEP_3)
	v_ashrrev_i32_e32 v5, 31, v4
	s_wait_xcnt 0x0
	v_cmp_gt_i32_e64 s0, s19, v4
	s_cselect_b32 s26, -1, 0
	v_or_b32_e32 v3, 0x1000, v12
	s_cmp_lg_u32 s17, 0
	s_wait_kmcnt 0x0
	v_mul_u64_e32 v[6:7], s[6:7], v[4:5]
	v_mad_nc_u64_u32 v[0:1], s10, v4, s[8:9]
	s_cselect_b32 s17, -1, 0
	v_mad_u32 v18, s23, v2, v10
	s_and_b32 s19, s27, s0
	s_cmp_neq_f32 s24, 0
	v_dual_add_nc_u32 v14, v12, v13 :: v_dual_add_nc_u32 v17, v3, v13
	v_add_nc_u64_e32 v[2:3], s[8:9], v[4:5]
	v_add_nc_u32_e32 v15, 0x400, v12
	v_add_nc_u32_e32 v16, 0x800, v12
	;; [unrolled: 1-line block ×3, first 2 shown]
	v_mad_u32 v1, s11, v4, v1
	s_cselect_b32 s8, -1, 0
	s_cmp_lg_u32 s20, 1
	s_mov_b32 s25, 0
	s_mul_i32 s22, s23, s22
	s_cselect_b32 s9, -1, 0
	s_lshl_b32 s20, s23, 5
	s_mul_i32 s27, s23, s23
	s_delay_alu instid0(VALU_DEP_1)
	v_mad_u32 v1, s10, v5, v1
	v_lshl_add_u64 v[4:5], v[4:5], 2, s[4:5]
	v_lshl_add_u64 v[6:7], v[6:7], 2, s[4:5]
	s_branch .LBB18_12
.LBB18_11:                              ;   in Loop: Header=BB18_12 Depth=1
	s_wait_xcnt 0x0
	s_or_b32 exec_lo, exec_lo, s1
	v_add_nc_u32_e32 v18, s20, v18
	s_add_co_i32 s25, s25, 32
	s_delay_alu instid0(SALU_CYCLE_1)
	s_cmp_lt_i32 s25, s23
	s_cbranch_scc0 .LBB18_55
.LBB18_12:                              ; =>This Loop Header: Depth=1
                                        ;     Child Loop BB18_15 Depth 2
                                        ;       Child Loop BB18_17 Depth 3
	v_dual_add_nc_u32 v8, s25, v11 :: v_dual_mov_b32 v20, 0
	s_and_not1_b32 vcc_lo, exec_lo, s26
	s_delay_alu instid0(VALU_DEP_1)
	v_cmp_gt_i32_e64 s1, s23, v8
	s_cbranch_vccnz .LBB18_43
; %bb.13:                               ;   in Loop: Header=BB18_12 Depth=1
	v_dual_mov_b32 v20, 0 :: v_dual_mov_b32 v9, v18
	s_mov_b32 s4, s3
	s_branch .LBB18_15
.LBB18_14:                              ;   in Loop: Header=BB18_15 Depth=2
	v_add_nc_u32_e32 v9, s27, v9
	s_add_co_i32 s4, s4, 1
	s_delay_alu instid0(SALU_CYCLE_1)
	s_cmp_ge_i32 s4, s18
	s_cbranch_scc1 .LBB18_43
.LBB18_15:                              ;   Parent Loop BB18_12 Depth=1
                                        ; =>  This Loop Header: Depth=2
                                        ;       Child Loop BB18_17 Depth 3
	s_ashr_i32 s5, s4, 31
	s_delay_alu instid0(SALU_CYCLE_1) | instskip(NEXT) | instid1(SALU_CYCLE_1)
	s_lshl_b64 s[28:29], s[4:5], 2
	s_add_nc_u64 s[28:29], s[12:13], s[28:29]
	s_load_b32 s5, s[28:29], 0x0
	s_wait_xcnt 0x0
	s_mov_b32 s28, 0
	s_wait_kmcnt 0x0
	s_sub_co_i32 s5, s5, s21
	s_delay_alu instid0(SALU_CYCLE_1)
	v_mad_u32 v21, s5, s23, v11
	s_mul_i32 s5, s4, s23
	s_branch .LBB18_17
.LBB18_16:                              ;   in Loop: Header=BB18_17 Depth=3
	s_wait_xcnt 0x0
	s_or_b32 exec_lo, exec_lo, s30
	ds_store_b32 v14, v23
	s_wait_dscnt 0x0
	s_barrier_signal -1
	s_barrier_wait -1
	ds_load_2addr_b32 v[30:31], v12 offset1:32
	ds_load_b128 v[22:25], v13 offset:4096
	ds_load_2addr_b32 v[32:33], v12 offset0:64 offset1:96
	ds_load_b128 v[26:29], v13 offset:4112
	ds_load_2addr_b32 v[34:35], v12 offset0:128 offset1:160
	s_add_co_i32 s28, s28, 32
	s_delay_alu instid0(SALU_CYCLE_1) | instskip(SKIP_2) | instid1(VALU_DEP_1)
	s_cmp_ge_i32 s28, s23
	s_wait_dscnt 0x3
	v_fmac_f32_e32 v20, v30, v22
	v_fmac_f32_e32 v20, v31, v23
	ds_load_2addr_b32 v[30:31], v12 offset0:192 offset1:224
	s_wait_dscnt 0x3
	v_fmac_f32_e32 v20, v32, v24
	s_delay_alu instid0(VALU_DEP_1) | instskip(SKIP_4) | instid1(VALU_DEP_1)
	v_fmac_f32_e32 v20, v33, v25
	ds_load_b128 v[22:25], v13 offset:4128
	ds_load_2addr_b32 v[32:33], v15 offset1:32
	s_wait_dscnt 0x3
	v_fmac_f32_e32 v20, v34, v26
	v_fmac_f32_e32 v20, v35, v27
	ds_load_2addr_b32 v[34:35], v15 offset0:64 offset1:96
	s_wait_dscnt 0x3
	v_fmac_f32_e32 v20, v30, v28
	s_delay_alu instid0(VALU_DEP_1) | instskip(SKIP_4) | instid1(VALU_DEP_1)
	v_fmac_f32_e32 v20, v31, v29
	ds_load_b128 v[26:29], v13 offset:4144
	ds_load_2addr_b32 v[30:31], v15 offset0:128 offset1:160
	s_wait_dscnt 0x3
	v_fmac_f32_e32 v20, v32, v22
	v_fmac_f32_e32 v20, v33, v23
	ds_load_2addr_b32 v[32:33], v15 offset0:192 offset1:224
	s_wait_dscnt 0x3
	v_fmac_f32_e32 v20, v34, v24
	s_delay_alu instid0(VALU_DEP_1) | instskip(SKIP_4) | instid1(VALU_DEP_1)
	v_fmac_f32_e32 v20, v35, v25
	ds_load_2addr_b32 v[34:35], v16 offset1:32
	ds_load_b128 v[22:25], v13 offset:4160
	s_wait_dscnt 0x3
	v_fmac_f32_e32 v20, v30, v26
	v_fmac_f32_e32 v20, v31, v27
	ds_load_2addr_b32 v[30:31], v16 offset0:64 offset1:96
	s_wait_dscnt 0x3
	v_fmac_f32_e32 v20, v32, v28
	s_delay_alu instid0(VALU_DEP_1) | instskip(SKIP_4) | instid1(VALU_DEP_1)
	v_fmac_f32_e32 v20, v33, v29
	ds_load_2addr_b32 v[32:33], v16 offset0:128 offset1:160
	ds_load_b128 v[26:29], v13 offset:4176
	s_wait_dscnt 0x3
	v_fmac_f32_e32 v20, v34, v22
	v_fmac_f32_e32 v20, v35, v23
	ds_load_2addr_b32 v[34:35], v16 offset0:192 offset1:224
	s_wait_dscnt 0x3
	v_fmac_f32_e32 v20, v30, v24
	s_delay_alu instid0(VALU_DEP_1) | instskip(SKIP_4) | instid1(VALU_DEP_1)
	v_fmac_f32_e32 v20, v31, v25
	ds_load_2addr_b32 v[30:31], v19 offset1:32
	ds_load_b128 v[22:25], v13 offset:4192
	s_wait_dscnt 0x3
	v_fmac_f32_e32 v20, v32, v26
	v_fmac_f32_e32 v20, v33, v27
	ds_load_2addr_b32 v[32:33], v19 offset0:64 offset1:96
	s_wait_dscnt 0x3
	v_fmac_f32_e32 v20, v34, v28
	s_delay_alu instid0(VALU_DEP_1) | instskip(SKIP_4) | instid1(VALU_DEP_1)
	v_fmac_f32_e32 v20, v35, v29
	ds_load_2addr_b32 v[34:35], v19 offset0:128 offset1:160
	ds_load_b128 v[26:29], v13 offset:4208
	s_wait_dscnt 0x3
	v_fmac_f32_e32 v20, v30, v22
	v_fmac_f32_e32 v20, v31, v23
	ds_load_2addr_b32 v[22:23], v19 offset0:192 offset1:224
	s_wait_dscnt 0x0
	s_barrier_signal -1
	s_barrier_wait -1
	v_fmac_f32_e32 v20, v32, v24
	s_delay_alu instid0(VALU_DEP_1) | instskip(NEXT) | instid1(VALU_DEP_1)
	v_fmac_f32_e32 v20, v33, v25
	v_fmac_f32_e32 v20, v34, v26
	s_delay_alu instid0(VALU_DEP_1) | instskip(NEXT) | instid1(VALU_DEP_1)
	v_fmac_f32_e32 v20, v35, v27
	v_fmac_f32_e32 v20, v22, v28
	s_delay_alu instid0(VALU_DEP_1)
	v_fmac_f32_e32 v20, v23, v29
	s_cbranch_scc1 .LBB18_14
.LBB18_17:                              ;   Parent Loop BB18_12 Depth=1
                                        ;     Parent Loop BB18_15 Depth=2
                                        ; =>    This Inner Loop Header: Depth=3
	s_and_b32 vcc_lo, exec_lo, s16
	s_mov_b32 s29, -1
                                        ; implicit-def: $vgpr22
	s_cbranch_vccnz .LBB18_26
; %bb.18:                               ;   in Loop: Header=BB18_17 Depth=3
	s_and_not1_b32 vcc_lo, exec_lo, s29
	s_cbranch_vccz .LBB18_31
.LBB18_19:                              ;   in Loop: Header=BB18_17 Depth=3
	s_and_b32 vcc_lo, exec_lo, s17
	ds_store_b32 v17, v22
	s_cbranch_vccz .LBB18_36
.LBB18_20:                              ;   in Loop: Header=BB18_17 Depth=3
	s_mov_b32 s30, 0
	s_mov_b32 s29, 0
                                        ; implicit-def: $vgpr22
	s_and_saveexec_b32 s31, s1
	s_cbranch_execz .LBB18_24
; %bb.21:                               ;   in Loop: Header=BB18_17 Depth=3
	v_add_nc_u32_e32 v23, s28, v10
	s_mov_b32 s33, exec_lo
                                        ; implicit-def: $vgpr22
	s_delay_alu instid0(VALU_DEP_1)
	v_cmpx_gt_i32_e64 s23, v23
	s_xor_b32 s33, exec_lo, s33
; %bb.22:                               ;   in Loop: Header=BB18_17 Depth=3
	v_add_nc_u32_e32 v22, s5, v23
	s_mov_b32 s29, exec_lo
	s_delay_alu instid0(VALU_DEP_1)
	v_mad_u32 v22, v22, s23, v8
; %bb.23:                               ;   in Loop: Header=BB18_17 Depth=3
	s_or_b32 exec_lo, exec_lo, s33
	s_delay_alu instid0(SALU_CYCLE_1)
	s_and_b32 s29, s29, exec_lo
.LBB18_24:                              ;   in Loop: Header=BB18_17 Depth=3
	s_or_b32 exec_lo, exec_lo, s31
	s_delay_alu instid0(SALU_CYCLE_1)
	s_and_b32 vcc_lo, exec_lo, s30
	s_cbranch_vccnz .LBB18_37
.LBB18_25:                              ;   in Loop: Header=BB18_17 Depth=3
	v_mov_b32_e32 v23, 0
	s_and_saveexec_b32 s30, s29
	s_cbranch_execz .LBB18_16
	s_branch .LBB18_42
.LBB18_26:                              ;   in Loop: Header=BB18_17 Depth=3
	v_mov_b32_e32 v22, 0
	s_and_saveexec_b32 s29, s0
	s_cbranch_execz .LBB18_30
; %bb.27:                               ;   in Loop: Header=BB18_17 Depth=3
	v_add_nc_u32_e32 v22, s28, v11
	s_delay_alu instid0(VALU_DEP_1)
	v_cmp_gt_i32_e32 vcc_lo, s23, v22
	v_mov_b32_e32 v22, 0
	s_and_saveexec_b32 s30, vcc_lo
	s_cbranch_execz .LBB18_29
; %bb.28:                               ;   in Loop: Header=BB18_17 Depth=3
	v_add_nc_u32_e32 v24, s28, v21
	s_delay_alu instid0(VALU_DEP_1) | instskip(NEXT) | instid1(VALU_DEP_1)
	v_mad_nc_u64_u32 v[22:23], s10, v24, v[2:3]
	v_mad_u32 v23, s11, v24, v23
	v_ashrrev_i32_e32 v24, 31, v24
	s_delay_alu instid0(VALU_DEP_1)
	v_mad_u32 v23, s10, v24, v23
	global_load_i8 v22, v[22:23], off
	s_wait_loadcnt 0x0
	s_wait_xcnt 0x0
	v_cvt_f32_i32_e32 v22, v22
.LBB18_29:                              ;   in Loop: Header=BB18_17 Depth=3
	s_or_b32 exec_lo, exec_lo, s30
.LBB18_30:                              ;   in Loop: Header=BB18_17 Depth=3
	s_delay_alu instid0(SALU_CYCLE_1)
	s_or_b32 exec_lo, exec_lo, s29
	s_cbranch_execnz .LBB18_19
.LBB18_31:                              ;   in Loop: Header=BB18_17 Depth=3
	v_mov_b32_e32 v22, 0
	s_and_saveexec_b32 s29, s0
	s_cbranch_execz .LBB18_35
; %bb.32:                               ;   in Loop: Header=BB18_17 Depth=3
	v_add_nc_u32_e32 v22, s28, v11
	s_delay_alu instid0(VALU_DEP_1)
	v_cmp_gt_i32_e32 vcc_lo, s23, v22
	v_mov_b32_e32 v22, 0
	s_and_saveexec_b32 s30, vcc_lo
	s_cbranch_execz .LBB18_34
; %bb.33:                               ;   in Loop: Header=BB18_17 Depth=3
	v_add_nc_u32_e32 v22, s28, v21
	s_delay_alu instid0(VALU_DEP_1) | instskip(NEXT) | instid1(VALU_DEP_1)
	v_ashrrev_i32_e32 v23, 31, v22
	v_add_nc_u64_e32 v[22:23], v[0:1], v[22:23]
	global_load_i8 v22, v[22:23], off
	s_wait_loadcnt 0x0
	s_wait_xcnt 0x0
	v_cvt_f32_i32_e32 v22, v22
.LBB18_34:                              ;   in Loop: Header=BB18_17 Depth=3
	s_or_b32 exec_lo, exec_lo, s30
.LBB18_35:                              ;   in Loop: Header=BB18_17 Depth=3
	s_delay_alu instid0(SALU_CYCLE_1) | instskip(NEXT) | instid1(SALU_CYCLE_1)
	s_or_b32 exec_lo, exec_lo, s29
	s_and_b32 vcc_lo, exec_lo, s17
	ds_store_b32 v17, v22
	s_cbranch_vccnz .LBB18_20
.LBB18_36:                              ;   in Loop: Header=BB18_17 Depth=3
	s_mov_b32 s29, 0
                                        ; implicit-def: $vgpr22
	s_cbranch_execz .LBB18_25
.LBB18_37:                              ;   in Loop: Header=BB18_17 Depth=3
                                        ; implicit-def: $vgpr22
	s_and_saveexec_b32 s30, s1
	s_cbranch_execz .LBB18_41
; %bb.38:                               ;   in Loop: Header=BB18_17 Depth=3
	v_add_nc_u32_e32 v22, s28, v10
	s_mov_b32 s31, s29
	s_delay_alu instid0(VALU_DEP_1)
	v_cmp_gt_i32_e32 vcc_lo, s23, v22
                                        ; implicit-def: $vgpr22
	s_and_saveexec_b32 s33, vcc_lo
; %bb.39:                               ;   in Loop: Header=BB18_17 Depth=3
	v_add_nc_u32_e32 v22, s28, v9
	s_or_b32 s31, s29, exec_lo
; %bb.40:                               ;   in Loop: Header=BB18_17 Depth=3
	s_or_b32 exec_lo, exec_lo, s33
	s_delay_alu instid0(SALU_CYCLE_1) | instskip(SKIP_1) | instid1(SALU_CYCLE_1)
	s_and_not1_b32 s29, s29, exec_lo
	s_and_b32 s31, s31, exec_lo
	s_or_b32 s29, s29, s31
.LBB18_41:                              ;   in Loop: Header=BB18_17 Depth=3
	s_or_b32 exec_lo, exec_lo, s30
	v_mov_b32_e32 v23, 0
	s_and_saveexec_b32 s30, s29
	s_cbranch_execz .LBB18_16
.LBB18_42:                              ;   in Loop: Header=BB18_17 Depth=3
	global_load_i8 v22, v22, s[14:15]
	s_wait_loadcnt 0x0
	v_cvt_f32_i32_e32 v23, v22
	s_branch .LBB18_16
.LBB18_43:                              ;   in Loop: Header=BB18_12 Depth=1
	v_cmp_gt_i32_e32 vcc_lo, s23, v8
	s_and_b32 s4, s19, vcc_lo
	s_delay_alu instid0(SALU_CYCLE_1)
	s_and_saveexec_b32 s1, s4
	s_cbranch_execz .LBB18_11
; %bb.44:                               ;   in Loop: Header=BB18_12 Depth=1
	v_add_nc_u32_e32 v8, s22, v8
	s_and_b32 vcc_lo, exec_lo, s8
	s_delay_alu instid0(VALU_DEP_1)
	v_ashrrev_i32_e32 v9, 31, v8
	s_cbranch_vccz .LBB18_50
; %bb.45:                               ;   in Loop: Header=BB18_12 Depth=1
	s_and_b32 vcc_lo, exec_lo, s9
	s_mov_b32 s4, -1
	s_cbranch_vccz .LBB18_47
; %bb.46:                               ;   in Loop: Header=BB18_12 Depth=1
	v_mul_u64_e32 v[22:23], s[6:7], v[8:9]
	v_mul_f32_e32 v24, s2, v20
	s_mov_b32 s4, 0
	s_delay_alu instid0(VALU_DEP_2)
	v_lshl_add_u64 v[22:23], v[22:23], 2, v[4:5]
	global_load_b32 v21, v[22:23], off
	s_wait_loadcnt 0x0
	v_fmac_f32_e32 v24, s24, v21
	global_store_b32 v[22:23], v24, off
.LBB18_47:                              ;   in Loop: Header=BB18_12 Depth=1
	s_and_not1_b32 vcc_lo, exec_lo, s4
	s_cbranch_vccnz .LBB18_49
; %bb.48:                               ;   in Loop: Header=BB18_12 Depth=1
	s_wait_xcnt 0x0
	v_lshl_add_u64 v[22:23], v[8:9], 2, v[6:7]
	v_mul_f32_e32 v24, s2, v20
	global_load_b32 v21, v[22:23], off
	s_wait_loadcnt 0x0
	v_fmac_f32_e32 v24, s24, v21
	global_store_b32 v[22:23], v24, off
.LBB18_49:                              ;   in Loop: Header=BB18_12 Depth=1
	s_cbranch_execnz .LBB18_11
	s_branch .LBB18_51
.LBB18_50:                              ;   in Loop: Header=BB18_12 Depth=1
.LBB18_51:                              ;   in Loop: Header=BB18_12 Depth=1
	v_mul_f32_e32 v20, s2, v20
	s_and_b32 vcc_lo, exec_lo, s9
	s_mov_b32 s4, -1
	s_cbranch_vccz .LBB18_53
; %bb.52:                               ;   in Loop: Header=BB18_12 Depth=1
	s_wait_xcnt 0x0
	v_mul_u64_e32 v[22:23], s[6:7], v[8:9]
	s_mov_b32 s4, 0
	s_delay_alu instid0(VALU_DEP_1)
	v_lshl_add_u64 v[22:23], v[22:23], 2, v[4:5]
	global_store_b32 v[22:23], v20, off
.LBB18_53:                              ;   in Loop: Header=BB18_12 Depth=1
	s_and_not1_b32 vcc_lo, exec_lo, s4
	s_cbranch_vccnz .LBB18_11
; %bb.54:                               ;   in Loop: Header=BB18_12 Depth=1
	v_lshl_add_u64 v[8:9], v[8:9], 2, v[6:7]
	global_store_b32 v[8:9], v20, off
	s_branch .LBB18_11
.LBB18_55:
	s_endpgm
	.section	.rodata,"a",@progbits
	.p2align	6, 0x0
	.amdhsa_kernel _ZN9rocsparseL29bsrmm_general_blockdim_kernelILj32ELj32EiiaaffEEvb20rocsparse_direction_T2_S2_llNS_24const_host_device_scalarIT6_EEPKT1_PKS2_PKT3_S2_PKT4_llS5_PT5_ll16rocsparse_order_21rocsparse_index_base_b
		.amdhsa_group_segment_fixed_size 8192
		.amdhsa_private_segment_fixed_size 0
		.amdhsa_kernarg_size 140
		.amdhsa_user_sgpr_count 2
		.amdhsa_user_sgpr_dispatch_ptr 0
		.amdhsa_user_sgpr_queue_ptr 0
		.amdhsa_user_sgpr_kernarg_segment_ptr 1
		.amdhsa_user_sgpr_dispatch_id 0
		.amdhsa_user_sgpr_kernarg_preload_length 0
		.amdhsa_user_sgpr_kernarg_preload_offset 0
		.amdhsa_user_sgpr_private_segment_size 0
		.amdhsa_wavefront_size32 1
		.amdhsa_uses_dynamic_stack 0
		.amdhsa_enable_private_segment 0
		.amdhsa_system_sgpr_workgroup_id_x 1
		.amdhsa_system_sgpr_workgroup_id_y 1
		.amdhsa_system_sgpr_workgroup_id_z 0
		.amdhsa_system_sgpr_workgroup_info 0
		.amdhsa_system_vgpr_workitem_id 1
		.amdhsa_next_free_vgpr 36
		.amdhsa_next_free_sgpr 34
		.amdhsa_named_barrier_count 0
		.amdhsa_reserve_vcc 1
		.amdhsa_float_round_mode_32 0
		.amdhsa_float_round_mode_16_64 0
		.amdhsa_float_denorm_mode_32 3
		.amdhsa_float_denorm_mode_16_64 3
		.amdhsa_fp16_overflow 0
		.amdhsa_memory_ordered 1
		.amdhsa_forward_progress 1
		.amdhsa_inst_pref_size 16
		.amdhsa_round_robin_scheduling 0
		.amdhsa_exception_fp_ieee_invalid_op 0
		.amdhsa_exception_fp_denorm_src 0
		.amdhsa_exception_fp_ieee_div_zero 0
		.amdhsa_exception_fp_ieee_overflow 0
		.amdhsa_exception_fp_ieee_underflow 0
		.amdhsa_exception_fp_ieee_inexact 0
		.amdhsa_exception_int_div_zero 0
	.end_amdhsa_kernel
	.section	.text._ZN9rocsparseL29bsrmm_general_blockdim_kernelILj32ELj32EiiaaffEEvb20rocsparse_direction_T2_S2_llNS_24const_host_device_scalarIT6_EEPKT1_PKS2_PKT3_S2_PKT4_llS5_PT5_ll16rocsparse_order_21rocsparse_index_base_b,"axG",@progbits,_ZN9rocsparseL29bsrmm_general_blockdim_kernelILj32ELj32EiiaaffEEvb20rocsparse_direction_T2_S2_llNS_24const_host_device_scalarIT6_EEPKT1_PKS2_PKT3_S2_PKT4_llS5_PT5_ll16rocsparse_order_21rocsparse_index_base_b,comdat
.Lfunc_end18:
	.size	_ZN9rocsparseL29bsrmm_general_blockdim_kernelILj32ELj32EiiaaffEEvb20rocsparse_direction_T2_S2_llNS_24const_host_device_scalarIT6_EEPKT1_PKS2_PKT3_S2_PKT4_llS5_PT5_ll16rocsparse_order_21rocsparse_index_base_b, .Lfunc_end18-_ZN9rocsparseL29bsrmm_general_blockdim_kernelILj32ELj32EiiaaffEEvb20rocsparse_direction_T2_S2_llNS_24const_host_device_scalarIT6_EEPKT1_PKS2_PKT3_S2_PKT4_llS5_PT5_ll16rocsparse_order_21rocsparse_index_base_b
                                        ; -- End function
	.set _ZN9rocsparseL29bsrmm_general_blockdim_kernelILj32ELj32EiiaaffEEvb20rocsparse_direction_T2_S2_llNS_24const_host_device_scalarIT6_EEPKT1_PKS2_PKT3_S2_PKT4_llS5_PT5_ll16rocsparse_order_21rocsparse_index_base_b.num_vgpr, 36
	.set _ZN9rocsparseL29bsrmm_general_blockdim_kernelILj32ELj32EiiaaffEEvb20rocsparse_direction_T2_S2_llNS_24const_host_device_scalarIT6_EEPKT1_PKS2_PKT3_S2_PKT4_llS5_PT5_ll16rocsparse_order_21rocsparse_index_base_b.num_agpr, 0
	.set _ZN9rocsparseL29bsrmm_general_blockdim_kernelILj32ELj32EiiaaffEEvb20rocsparse_direction_T2_S2_llNS_24const_host_device_scalarIT6_EEPKT1_PKS2_PKT3_S2_PKT4_llS5_PT5_ll16rocsparse_order_21rocsparse_index_base_b.numbered_sgpr, 34
	.set _ZN9rocsparseL29bsrmm_general_blockdim_kernelILj32ELj32EiiaaffEEvb20rocsparse_direction_T2_S2_llNS_24const_host_device_scalarIT6_EEPKT1_PKS2_PKT3_S2_PKT4_llS5_PT5_ll16rocsparse_order_21rocsparse_index_base_b.num_named_barrier, 0
	.set _ZN9rocsparseL29bsrmm_general_blockdim_kernelILj32ELj32EiiaaffEEvb20rocsparse_direction_T2_S2_llNS_24const_host_device_scalarIT6_EEPKT1_PKS2_PKT3_S2_PKT4_llS5_PT5_ll16rocsparse_order_21rocsparse_index_base_b.private_seg_size, 0
	.set _ZN9rocsparseL29bsrmm_general_blockdim_kernelILj32ELj32EiiaaffEEvb20rocsparse_direction_T2_S2_llNS_24const_host_device_scalarIT6_EEPKT1_PKS2_PKT3_S2_PKT4_llS5_PT5_ll16rocsparse_order_21rocsparse_index_base_b.uses_vcc, 1
	.set _ZN9rocsparseL29bsrmm_general_blockdim_kernelILj32ELj32EiiaaffEEvb20rocsparse_direction_T2_S2_llNS_24const_host_device_scalarIT6_EEPKT1_PKS2_PKT3_S2_PKT4_llS5_PT5_ll16rocsparse_order_21rocsparse_index_base_b.uses_flat_scratch, 0
	.set _ZN9rocsparseL29bsrmm_general_blockdim_kernelILj32ELj32EiiaaffEEvb20rocsparse_direction_T2_S2_llNS_24const_host_device_scalarIT6_EEPKT1_PKS2_PKT3_S2_PKT4_llS5_PT5_ll16rocsparse_order_21rocsparse_index_base_b.has_dyn_sized_stack, 0
	.set _ZN9rocsparseL29bsrmm_general_blockdim_kernelILj32ELj32EiiaaffEEvb20rocsparse_direction_T2_S2_llNS_24const_host_device_scalarIT6_EEPKT1_PKS2_PKT3_S2_PKT4_llS5_PT5_ll16rocsparse_order_21rocsparse_index_base_b.has_recursion, 0
	.set _ZN9rocsparseL29bsrmm_general_blockdim_kernelILj32ELj32EiiaaffEEvb20rocsparse_direction_T2_S2_llNS_24const_host_device_scalarIT6_EEPKT1_PKS2_PKT3_S2_PKT4_llS5_PT5_ll16rocsparse_order_21rocsparse_index_base_b.has_indirect_call, 0
	.section	.AMDGPU.csdata,"",@progbits
; Kernel info:
; codeLenInByte = 1976
; TotalNumSgprs: 36
; NumVgprs: 36
; ScratchSize: 0
; MemoryBound: 0
; FloatMode: 240
; IeeeMode: 1
; LDSByteSize: 8192 bytes/workgroup (compile time only)
; SGPRBlocks: 0
; VGPRBlocks: 2
; NumSGPRsForWavesPerEU: 36
; NumVGPRsForWavesPerEU: 36
; NamedBarCnt: 0
; Occupancy: 16
; WaveLimiterHint : 1
; COMPUTE_PGM_RSRC2:SCRATCH_EN: 0
; COMPUTE_PGM_RSRC2:USER_SGPR: 2
; COMPUTE_PGM_RSRC2:TRAP_HANDLER: 0
; COMPUTE_PGM_RSRC2:TGID_X_EN: 1
; COMPUTE_PGM_RSRC2:TGID_Y_EN: 1
; COMPUTE_PGM_RSRC2:TGID_Z_EN: 0
; COMPUTE_PGM_RSRC2:TIDIG_COMP_CNT: 1
	.section	.text._ZN9rocsparseL29bsrmm_general_blockdim_kernelILj32ELj32EliaaffEEvb20rocsparse_direction_T2_S2_llNS_24const_host_device_scalarIT6_EEPKT1_PKS2_PKT3_S2_PKT4_llS5_PT5_ll16rocsparse_order_21rocsparse_index_base_b,"axG",@progbits,_ZN9rocsparseL29bsrmm_general_blockdim_kernelILj32ELj32EliaaffEEvb20rocsparse_direction_T2_S2_llNS_24const_host_device_scalarIT6_EEPKT1_PKS2_PKT3_S2_PKT4_llS5_PT5_ll16rocsparse_order_21rocsparse_index_base_b,comdat
	.globl	_ZN9rocsparseL29bsrmm_general_blockdim_kernelILj32ELj32EliaaffEEvb20rocsparse_direction_T2_S2_llNS_24const_host_device_scalarIT6_EEPKT1_PKS2_PKT3_S2_PKT4_llS5_PT5_ll16rocsparse_order_21rocsparse_index_base_b ; -- Begin function _ZN9rocsparseL29bsrmm_general_blockdim_kernelILj32ELj32EliaaffEEvb20rocsparse_direction_T2_S2_llNS_24const_host_device_scalarIT6_EEPKT1_PKS2_PKT3_S2_PKT4_llS5_PT5_ll16rocsparse_order_21rocsparse_index_base_b
	.p2align	8
	.type	_ZN9rocsparseL29bsrmm_general_blockdim_kernelILj32ELj32EliaaffEEvb20rocsparse_direction_T2_S2_llNS_24const_host_device_scalarIT6_EEPKT1_PKS2_PKT3_S2_PKT4_llS5_PT5_ll16rocsparse_order_21rocsparse_index_base_b,@function
_ZN9rocsparseL29bsrmm_general_blockdim_kernelILj32ELj32EliaaffEEvb20rocsparse_direction_T2_S2_llNS_24const_host_device_scalarIT6_EEPKT1_PKS2_PKT3_S2_PKT4_llS5_PT5_ll16rocsparse_order_21rocsparse_index_base_b: ; @_ZN9rocsparseL29bsrmm_general_blockdim_kernelILj32ELj32EliaaffEEvb20rocsparse_direction_T2_S2_llNS_24const_host_device_scalarIT6_EEPKT1_PKS2_PKT3_S2_PKT4_llS5_PT5_ll16rocsparse_order_21rocsparse_index_base_b
; %bb.0:
	s_clause 0x2
	s_load_b96 s[20:22], s[0:1], 0x80
	s_load_b64 s[2:3], s[0:1], 0x20
	s_load_b64 s[24:25], s[0:1], 0x60
	s_wait_kmcnt 0x0
	s_bitcmp1_b32 s22, 0
	s_cselect_b32 s4, -1, 0
	s_delay_alu instid0(SALU_CYCLE_1)
	s_and_b32 vcc_lo, exec_lo, s4
	s_xor_b32 s4, s4, -1
	s_cbranch_vccnz .LBB19_2
; %bb.1:
	s_load_b32 s2, s[2:3], 0x0
.LBB19_2:
	s_and_not1_b32 vcc_lo, exec_lo, s4
	s_cbranch_vccnz .LBB19_4
; %bb.3:
	s_load_b32 s24, s[24:25], 0x0
.LBB19_4:
	s_wait_kmcnt 0x0
	s_cmp_eq_f32 s2, 0
	s_cselect_b32 s3, -1, 0
	s_cmp_eq_f32 s24, 1.0
	s_cselect_b32 s4, -1, 0
	s_delay_alu instid0(SALU_CYCLE_1) | instskip(NEXT) | instid1(SALU_CYCLE_1)
	s_and_b32 s3, s3, s4
	s_and_b32 vcc_lo, exec_lo, s3
	s_cbranch_vccnz .LBB19_51
; %bb.5:
	s_clause 0x1
	s_load_b128 s[16:19], s[0:1], 0x0
	s_load_b64 s[4:5], s[0:1], 0x28
	s_bfe_u32 s3, ttmp6, 0x4000c
	s_and_b32 s6, ttmp6, 15
	s_add_co_i32 s3, s3, 1
	s_getreg_b32 s12, hwreg(HW_REG_IB_STS2, 6, 4)
	s_mul_i32 s3, ttmp9, s3
	s_mov_b64 s[22:23], 0
	s_add_co_i32 s6, s6, s3
	s_cmp_eq_u32 s12, 0
	s_mov_b64 s[26:27], 0
	s_cselect_b32 s28, ttmp9, s6
	s_wait_kmcnt 0x0
	s_cmp_lt_i32 s28, s18
	s_cselect_b32 s30, -1, 0
	s_cmp_ge_i32 s28, s18
	s_cbranch_scc0 .LBB19_8
; %bb.6:
	s_and_not1_b32 vcc_lo, exec_lo, s30
	s_cbranch_vccz .LBB19_9
.LBB19_7:
	s_load_b32 s3, s[0:1], 0x40
	s_wait_kmcnt 0x0
	s_cmp_lt_i32 s3, 1
	s_cbranch_scc0 .LBB19_10
	s_branch .LBB19_51
.LBB19_8:
	s_ashr_i32 s29, s28, 31
	s_mov_b32 s9, 0
	s_lshl_b64 s[6:7], s[28:29], 3
	s_mov_b32 s8, s21
	s_add_nc_u64 s[6:7], s[4:5], s[6:7]
	s_load_b64 s[6:7], s[6:7], 0x0
	s_wait_kmcnt 0x0
	s_sub_nc_u64 s[26:27], s[6:7], s[8:9]
	s_and_not1_b32 vcc_lo, exec_lo, s30
	s_cbranch_vccnz .LBB19_7
.LBB19_9:
	s_ashr_i32 s29, s28, 31
	s_delay_alu instid0(SALU_CYCLE_1) | instskip(NEXT) | instid1(SALU_CYCLE_1)
	s_lshl_b64 s[6:7], s[28:29], 3
	s_add_nc_u64 s[4:5], s[4:5], s[6:7]
	s_mov_b32 s7, 0
	s_load_b64 s[4:5], s[4:5], 0x8
	s_mov_b32 s6, s21
	s_wait_kmcnt 0x0
	s_sub_nc_u64 s[22:23], s[4:5], s[6:7]
	s_load_b32 s3, s[0:1], 0x40
	s_wait_kmcnt 0x0
	s_cmp_lt_i32 s3, 1
	s_cbranch_scc1 .LBB19_51
.LBB19_10:
	s_bitcmp1_b32 s16, 0
	s_load_b128 s[4:7], s[0:1], 0x68
	s_cselect_b32 s13, -1, 0
	s_bfe_u32 s14, ttmp6, 0x40010
	s_bfe_u32 s15, ttmp6, 0x40004
	s_add_co_i32 s14, s14, 1
	s_load_b128 s[8:11], s[0:1], 0x48
	s_mul_i32 s14, ttmp7, s14
	v_bfe_u32 v12, v0, 10, 10
	s_xor_b32 s16, s13, -1
	s_add_co_i32 s15, s15, s14
	s_cmp_eq_u32 s12, 0
	v_and_b32_e32 v13, 0x3ff, v0
	s_cselect_b32 s12, ttmp7, s15
	v_lshlrev_b32_e32 v15, 7, v12
	v_lshl_add_u32 v4, s12, 5, v12
	s_load_b128 s[12:15], s[0:1], 0x30
	s_cmp_lg_u32 s17, 0
	v_lshlrev_b32_e32 v14, 2, v13
	s_cselect_b32 s17, -1, 0
	v_ashrrev_i32_e32 v5, 31, v4
	s_wait_xcnt 0x0
	v_cmp_gt_i32_e64 s0, s19, v4
	v_cmp_lt_i64_e64 s25, s[26:27], s[22:23]
	v_or_b32_e32 v1, 0x1000, v14
	v_add_nc_u32_e32 v16, v14, v15
	s_wait_kmcnt 0x0
	v_mul_u64_e32 v[6:7], s[6:7], v[4:5]
	v_mad_nc_u64_u32 v[2:3], s10, v4, s[8:9]
	s_and_b32 s19, s30, s0
	s_cmp_neq_f32 s24, 0
	v_add_nc_u32_e32 v19, v1, v15
	v_add_nc_u32_e32 v17, 0x400, v14
	;; [unrolled: 1-line block ×4, first 2 shown]
	s_mov_b32 s29, 0
	s_cselect_b32 s30, -1, 0
	s_cmp_lg_u32 s20, 1
	s_mul_i32 s18, s3, s28
	v_mad_u32 v0, s11, v4, v3
	s_mul_i32 s28, s3, s3
	s_cselect_b32 s20, -1, 0
	s_mov_b32 s31, s29
	s_delay_alu instid0(VALU_DEP_1)
	v_mad_u32 v3, s10, v5, v0
	v_add_nc_u64_e32 v[0:1], s[8:9], v[4:5]
	v_lshl_add_u64 v[4:5], v[4:5], 2, s[4:5]
	v_lshl_add_u64 v[6:7], v[6:7], 2, s[4:5]
	s_branch .LBB19_12
.LBB19_11:                              ;   in Loop: Header=BB19_12 Depth=1
	s_wait_xcnt 0x0
	s_or_b32 exec_lo, exec_lo, s1
	s_add_co_i32 s31, s31, 32
	s_delay_alu instid0(SALU_CYCLE_1)
	s_cmp_lt_i32 s31, s3
	s_cbranch_scc0 .LBB19_51
.LBB19_12:                              ; =>This Loop Header: Depth=1
                                        ;     Child Loop BB19_15 Depth 2
                                        ;       Child Loop BB19_17 Depth 3
	v_dual_mov_b32 v21, 0 :: v_dual_add_nc_u32 v22, s31, v13
	s_and_not1_b32 vcc_lo, exec_lo, s25
	s_delay_alu instid0(VALU_DEP_1)
	v_cmp_gt_i32_e64 s1, s3, v22
	s_cbranch_vccnz .LBB19_39
; %bb.13:                               ;   in Loop: Header=BB19_12 Depth=1
	v_mul_lo_u32 v23, v22, s3
	v_mov_b32_e32 v21, 0
	s_mov_b64 s[4:5], s[26:27]
	s_branch .LBB19_15
.LBB19_14:                              ;   in Loop: Header=BB19_15 Depth=2
	s_add_nc_u64 s[4:5], s[4:5], 1
	s_delay_alu instid0(SALU_CYCLE_1)
	v_cmp_ge_i64_e64 s8, s[4:5], s[22:23]
	s_and_b32 vcc_lo, exec_lo, s8
	s_cbranch_vccnz .LBB19_39
.LBB19_15:                              ;   Parent Loop BB19_12 Depth=1
                                        ; =>  This Loop Header: Depth=2
                                        ;       Child Loop BB19_17 Depth 3
	s_lshl_b64 s[8:9], s[4:5], 2
	s_mov_b32 s33, 0
	s_add_nc_u64 s[8:9], s[12:13], s[8:9]
	s_load_b32 s8, s[8:9], 0x0
	s_wait_kmcnt 0x0
	s_wait_xcnt 0x0
	s_sub_co_i32 s8, s8, s21
	s_delay_alu instid0(SALU_CYCLE_1) | instskip(SKIP_1) | instid1(SALU_CYCLE_1)
	v_mad_u32 v24, s8, s3, v13
	s_mul_u64 s[8:9], s[4:5], s[28:29]
	s_add_nc_u64 s[8:9], s[14:15], s[8:9]
	s_branch .LBB19_17
.LBB19_16:                              ;   in Loop: Header=BB19_17 Depth=3
	s_or_b32 exec_lo, exec_lo, s34
	ds_store_b32 v16, v9
	s_wait_dscnt 0x0
	s_barrier_signal -1
	s_barrier_wait -1
	ds_load_2addr_b32 v[30:31], v14 offset1:32
	ds_load_b128 v[8:11], v15 offset:4096
	ds_load_2addr_b32 v[32:33], v14 offset0:64 offset1:96
	ds_load_b128 v[26:29], v15 offset:4112
	ds_load_2addr_b32 v[34:35], v14 offset0:128 offset1:160
	s_add_co_i32 s33, s33, 32
	s_delay_alu instid0(SALU_CYCLE_1) | instskip(SKIP_2) | instid1(VALU_DEP_1)
	s_cmp_ge_i32 s33, s3
	s_wait_dscnt 0x3
	v_fmac_f32_e32 v21, v30, v8
	v_fmac_f32_e32 v21, v31, v9
	ds_load_2addr_b32 v[30:31], v14 offset0:192 offset1:224
	s_wait_dscnt 0x3
	v_fmac_f32_e32 v21, v32, v10
	s_delay_alu instid0(VALU_DEP_1) | instskip(SKIP_4) | instid1(VALU_DEP_1)
	v_fmac_f32_e32 v21, v33, v11
	ds_load_b128 v[8:11], v15 offset:4128
	ds_load_2addr_b32 v[32:33], v17 offset1:32
	s_wait_dscnt 0x3
	v_fmac_f32_e32 v21, v34, v26
	v_fmac_f32_e32 v21, v35, v27
	ds_load_2addr_b32 v[34:35], v17 offset0:64 offset1:96
	s_wait_dscnt 0x3
	v_fmac_f32_e32 v21, v30, v28
	s_delay_alu instid0(VALU_DEP_1) | instskip(SKIP_4) | instid1(VALU_DEP_1)
	v_fmac_f32_e32 v21, v31, v29
	ds_load_b128 v[26:29], v15 offset:4144
	ds_load_2addr_b32 v[30:31], v17 offset0:128 offset1:160
	s_wait_dscnt 0x3
	v_fmac_f32_e32 v21, v32, v8
	v_fmac_f32_e32 v21, v33, v9
	ds_load_2addr_b32 v[32:33], v17 offset0:192 offset1:224
	s_wait_dscnt 0x3
	v_fmac_f32_e32 v21, v34, v10
	s_delay_alu instid0(VALU_DEP_1) | instskip(SKIP_4) | instid1(VALU_DEP_1)
	v_fmac_f32_e32 v21, v35, v11
	ds_load_2addr_b32 v[34:35], v18 offset1:32
	ds_load_b128 v[8:11], v15 offset:4160
	s_wait_dscnt 0x3
	v_fmac_f32_e32 v21, v30, v26
	v_fmac_f32_e32 v21, v31, v27
	ds_load_2addr_b32 v[30:31], v18 offset0:64 offset1:96
	s_wait_dscnt 0x3
	v_fmac_f32_e32 v21, v32, v28
	s_delay_alu instid0(VALU_DEP_1) | instskip(SKIP_4) | instid1(VALU_DEP_1)
	v_fmac_f32_e32 v21, v33, v29
	ds_load_2addr_b32 v[32:33], v18 offset0:128 offset1:160
	ds_load_b128 v[26:29], v15 offset:4176
	s_wait_dscnt 0x3
	v_fmac_f32_e32 v21, v34, v8
	v_fmac_f32_e32 v21, v35, v9
	ds_load_2addr_b32 v[34:35], v18 offset0:192 offset1:224
	s_wait_dscnt 0x3
	v_fmac_f32_e32 v21, v30, v10
	s_delay_alu instid0(VALU_DEP_1) | instskip(SKIP_4) | instid1(VALU_DEP_1)
	v_fmac_f32_e32 v21, v31, v11
	ds_load_2addr_b32 v[30:31], v20 offset1:32
	ds_load_b128 v[8:11], v15 offset:4192
	s_wait_dscnt 0x3
	v_fmac_f32_e32 v21, v32, v26
	v_fmac_f32_e32 v21, v33, v27
	ds_load_2addr_b32 v[32:33], v20 offset0:64 offset1:96
	s_wait_dscnt 0x3
	v_fmac_f32_e32 v21, v34, v28
	s_delay_alu instid0(VALU_DEP_1) | instskip(SKIP_4) | instid1(VALU_DEP_1)
	v_fmac_f32_e32 v21, v35, v29
	ds_load_2addr_b32 v[34:35], v20 offset0:128 offset1:160
	ds_load_b128 v[26:29], v15 offset:4208
	s_wait_dscnt 0x3
	v_fmac_f32_e32 v21, v30, v8
	v_fmac_f32_e32 v21, v31, v9
	ds_load_2addr_b32 v[8:9], v20 offset0:192 offset1:224
	s_wait_dscnt 0x0
	s_barrier_signal -1
	s_barrier_wait -1
	v_fmac_f32_e32 v21, v32, v10
	s_delay_alu instid0(VALU_DEP_1) | instskip(NEXT) | instid1(VALU_DEP_1)
	v_fmac_f32_e32 v21, v33, v11
	v_fmac_f32_e32 v21, v34, v26
	s_delay_alu instid0(VALU_DEP_1) | instskip(NEXT) | instid1(VALU_DEP_1)
	v_fmac_f32_e32 v21, v35, v27
	v_fmac_f32_e32 v21, v8, v28
	s_delay_alu instid0(VALU_DEP_1)
	v_fmac_f32_e32 v21, v9, v29
	s_cbranch_scc1 .LBB19_14
.LBB19_17:                              ;   Parent Loop BB19_12 Depth=1
                                        ;     Parent Loop BB19_15 Depth=2
                                        ; =>    This Inner Loop Header: Depth=3
	s_and_b32 vcc_lo, exec_lo, s16
	s_mov_b32 s34, -1
                                        ; implicit-def: $vgpr8
	s_cbranch_vccnz .LBB19_26
; %bb.18:                               ;   in Loop: Header=BB19_17 Depth=3
	s_and_not1_b32 vcc_lo, exec_lo, s34
	s_cbranch_vccz .LBB19_31
.LBB19_19:                              ;   in Loop: Header=BB19_17 Depth=3
	s_and_b32 vcc_lo, exec_lo, s17
	ds_store_b32 v19, v8
	s_cbranch_vccz .LBB19_36
.LBB19_20:                              ;   in Loop: Header=BB19_17 Depth=3
	s_mov_b32 s34, 0
	s_mov_b32 s35, 0
                                        ; implicit-def: $vgpr8
	s_and_saveexec_b32 s36, s1
	s_cbranch_execz .LBB19_24
; %bb.21:                               ;   in Loop: Header=BB19_17 Depth=3
	v_add_nc_u32_e32 v9, s33, v12
	s_mov_b32 s37, exec_lo
                                        ; implicit-def: $vgpr8
	s_delay_alu instid0(VALU_DEP_1)
	v_cmpx_gt_i32_e64 s3, v9
	s_xor_b32 s37, exec_lo, s37
; %bb.22:                               ;   in Loop: Header=BB19_17 Depth=3
	s_mov_b32 s35, exec_lo
	v_mul_lo_u32 v8, v9, s3
; %bb.23:                               ;   in Loop: Header=BB19_17 Depth=3
	s_or_b32 exec_lo, exec_lo, s37
	s_delay_alu instid0(SALU_CYCLE_1)
	s_and_b32 s35, s35, exec_lo
.LBB19_24:                              ;   in Loop: Header=BB19_17 Depth=3
	s_or_b32 exec_lo, exec_lo, s36
	s_delay_alu instid0(SALU_CYCLE_1)
	s_and_b32 vcc_lo, exec_lo, s34
	s_cbranch_vccz .LBB19_37
.LBB19_25:                              ;   in Loop: Header=BB19_17 Depth=3
	v_dual_add_nc_u32 v8, s33, v12 :: v_dual_mov_b32 v10, v23
	s_and_not1_b32 s35, s35, exec_lo
	s_delay_alu instid0(VALU_DEP_1) | instskip(SKIP_1) | instid1(SALU_CYCLE_1)
	v_cmp_gt_i32_e32 vcc_lo, s3, v8
	s_and_b32 s34, s1, vcc_lo
	s_and_b32 s34, s34, exec_lo
	s_delay_alu instid0(SALU_CYCLE_1)
	s_or_b32 s35, s35, s34
	v_mov_b32_e32 v9, 0
	s_and_saveexec_b32 s34, s35
	s_cbranch_execz .LBB19_16
	s_branch .LBB19_38
.LBB19_26:                              ;   in Loop: Header=BB19_17 Depth=3
	v_mov_b32_e32 v8, 0
	s_and_saveexec_b32 s34, s0
	s_cbranch_execz .LBB19_30
; %bb.27:                               ;   in Loop: Header=BB19_17 Depth=3
	v_add_nc_u32_e32 v8, s33, v13
	s_delay_alu instid0(VALU_DEP_1)
	v_cmp_gt_i32_e32 vcc_lo, s3, v8
	v_mov_b32_e32 v8, 0
	s_and_saveexec_b32 s35, vcc_lo
	s_cbranch_execz .LBB19_29
; %bb.28:                               ;   in Loop: Header=BB19_17 Depth=3
	v_add_nc_u32_e32 v10, s33, v24
	s_delay_alu instid0(VALU_DEP_1) | instskip(NEXT) | instid1(VALU_DEP_1)
	v_mad_nc_u64_u32 v[8:9], s10, v10, v[0:1]
	v_mad_u32 v9, s11, v10, v9
	v_ashrrev_i32_e32 v10, 31, v10
	s_delay_alu instid0(VALU_DEP_1)
	v_mad_u32 v9, s10, v10, v9
	global_load_i8 v8, v[8:9], off
	s_wait_loadcnt 0x0
	s_wait_xcnt 0x0
	v_cvt_f32_i32_e32 v8, v8
.LBB19_29:                              ;   in Loop: Header=BB19_17 Depth=3
	s_or_b32 exec_lo, exec_lo, s35
.LBB19_30:                              ;   in Loop: Header=BB19_17 Depth=3
	s_delay_alu instid0(SALU_CYCLE_1)
	s_or_b32 exec_lo, exec_lo, s34
	s_cbranch_execnz .LBB19_19
.LBB19_31:                              ;   in Loop: Header=BB19_17 Depth=3
	v_mov_b32_e32 v8, 0
	s_and_saveexec_b32 s34, s0
	s_cbranch_execz .LBB19_35
; %bb.32:                               ;   in Loop: Header=BB19_17 Depth=3
	v_add_nc_u32_e32 v8, s33, v13
	s_delay_alu instid0(VALU_DEP_1)
	v_cmp_gt_i32_e32 vcc_lo, s3, v8
	v_mov_b32_e32 v8, 0
	s_and_saveexec_b32 s35, vcc_lo
	s_cbranch_execz .LBB19_34
; %bb.33:                               ;   in Loop: Header=BB19_17 Depth=3
	v_add_nc_u32_e32 v8, s33, v24
	s_delay_alu instid0(VALU_DEP_1) | instskip(NEXT) | instid1(VALU_DEP_1)
	v_ashrrev_i32_e32 v9, 31, v8
	v_add_nc_u64_e32 v[8:9], v[2:3], v[8:9]
	global_load_i8 v8, v[8:9], off
	s_wait_loadcnt 0x0
	s_wait_xcnt 0x0
	v_cvt_f32_i32_e32 v8, v8
.LBB19_34:                              ;   in Loop: Header=BB19_17 Depth=3
	s_or_b32 exec_lo, exec_lo, s35
.LBB19_35:                              ;   in Loop: Header=BB19_17 Depth=3
	s_delay_alu instid0(SALU_CYCLE_1) | instskip(NEXT) | instid1(SALU_CYCLE_1)
	s_or_b32 exec_lo, exec_lo, s34
	s_and_b32 vcc_lo, exec_lo, s17
	ds_store_b32 v19, v8
	s_cbranch_vccnz .LBB19_20
.LBB19_36:                              ;   in Loop: Header=BB19_17 Depth=3
	s_mov_b32 s35, 0
                                        ; implicit-def: $vgpr8
	s_cbranch_execnz .LBB19_25
.LBB19_37:                              ;   in Loop: Header=BB19_17 Depth=3
	v_dual_mov_b32 v10, v22 :: v_dual_mov_b32 v9, 0
	s_and_saveexec_b32 s34, s35
	s_cbranch_execz .LBB19_16
.LBB19_38:                              ;   in Loop: Header=BB19_17 Depth=3
	s_delay_alu instid0(VALU_DEP_1) | instskip(NEXT) | instid1(VALU_DEP_1)
	v_dual_ashrrev_i32 v11, 31, v10 :: v_dual_ashrrev_i32 v9, 31, v8
	v_add_nc_u64_e32 v[10:11], s[8:9], v[10:11]
	s_delay_alu instid0(VALU_DEP_1)
	v_add_nc_u64_e32 v[8:9], v[10:11], v[8:9]
	global_load_i8 v8, v[8:9], off
	s_wait_loadcnt 0x0
	s_wait_xcnt 0x0
	v_cvt_f32_i32_e32 v9, v8
	s_branch .LBB19_16
.LBB19_39:                              ;   in Loop: Header=BB19_12 Depth=1
	v_cmp_gt_i32_e32 vcc_lo, s3, v22
	s_and_b32 s4, s19, vcc_lo
	s_delay_alu instid0(SALU_CYCLE_1)
	s_and_saveexec_b32 s1, s4
	s_cbranch_execz .LBB19_11
; %bb.40:                               ;   in Loop: Header=BB19_12 Depth=1
	v_add_nc_u32_e32 v8, s18, v22
	s_and_b32 vcc_lo, exec_lo, s30
	s_delay_alu instid0(VALU_DEP_1)
	v_ashrrev_i32_e32 v9, 31, v8
	s_cbranch_vccz .LBB19_46
; %bb.41:                               ;   in Loop: Header=BB19_12 Depth=1
	s_and_b32 vcc_lo, exec_lo, s20
	s_mov_b32 s4, -1
	s_cbranch_vccz .LBB19_43
; %bb.42:                               ;   in Loop: Header=BB19_12 Depth=1
	v_mul_u64_e32 v[10:11], s[6:7], v[8:9]
	v_mul_f32_e32 v23, s2, v21
	s_mov_b32 s4, 0
	s_delay_alu instid0(VALU_DEP_2)
	v_lshl_add_u64 v[10:11], v[10:11], 2, v[4:5]
	global_load_b32 v22, v[10:11], off
	s_wait_loadcnt 0x0
	v_fmac_f32_e32 v23, s24, v22
	global_store_b32 v[10:11], v23, off
.LBB19_43:                              ;   in Loop: Header=BB19_12 Depth=1
	s_and_not1_b32 vcc_lo, exec_lo, s4
	s_cbranch_vccnz .LBB19_45
; %bb.44:                               ;   in Loop: Header=BB19_12 Depth=1
	s_wait_xcnt 0x0
	v_lshl_add_u64 v[10:11], v[8:9], 2, v[6:7]
	v_mul_f32_e32 v23, s2, v21
	global_load_b32 v22, v[10:11], off
	s_wait_loadcnt 0x0
	v_fmac_f32_e32 v23, s24, v22
	global_store_b32 v[10:11], v23, off
.LBB19_45:                              ;   in Loop: Header=BB19_12 Depth=1
	s_cbranch_execnz .LBB19_11
	s_branch .LBB19_47
.LBB19_46:                              ;   in Loop: Header=BB19_12 Depth=1
.LBB19_47:                              ;   in Loop: Header=BB19_12 Depth=1
	s_wait_xcnt 0x0
	v_mul_f32_e32 v10, s2, v21
	s_and_b32 vcc_lo, exec_lo, s20
	s_mov_b32 s4, -1
	s_cbranch_vccz .LBB19_49
; %bb.48:                               ;   in Loop: Header=BB19_12 Depth=1
	v_mul_u64_e32 v[22:23], s[6:7], v[8:9]
	s_mov_b32 s4, 0
	s_delay_alu instid0(VALU_DEP_1)
	v_lshl_add_u64 v[22:23], v[22:23], 2, v[4:5]
	global_store_b32 v[22:23], v10, off
.LBB19_49:                              ;   in Loop: Header=BB19_12 Depth=1
	s_and_not1_b32 vcc_lo, exec_lo, s4
	s_cbranch_vccnz .LBB19_11
; %bb.50:                               ;   in Loop: Header=BB19_12 Depth=1
	v_lshl_add_u64 v[8:9], v[8:9], 2, v[6:7]
	global_store_b32 v[8:9], v10, off
	s_branch .LBB19_11
.LBB19_51:
	s_endpgm
	.section	.rodata,"a",@progbits
	.p2align	6, 0x0
	.amdhsa_kernel _ZN9rocsparseL29bsrmm_general_blockdim_kernelILj32ELj32EliaaffEEvb20rocsparse_direction_T2_S2_llNS_24const_host_device_scalarIT6_EEPKT1_PKS2_PKT3_S2_PKT4_llS5_PT5_ll16rocsparse_order_21rocsparse_index_base_b
		.amdhsa_group_segment_fixed_size 8192
		.amdhsa_private_segment_fixed_size 0
		.amdhsa_kernarg_size 140
		.amdhsa_user_sgpr_count 2
		.amdhsa_user_sgpr_dispatch_ptr 0
		.amdhsa_user_sgpr_queue_ptr 0
		.amdhsa_user_sgpr_kernarg_segment_ptr 1
		.amdhsa_user_sgpr_dispatch_id 0
		.amdhsa_user_sgpr_kernarg_preload_length 0
		.amdhsa_user_sgpr_kernarg_preload_offset 0
		.amdhsa_user_sgpr_private_segment_size 0
		.amdhsa_wavefront_size32 1
		.amdhsa_uses_dynamic_stack 0
		.amdhsa_enable_private_segment 0
		.amdhsa_system_sgpr_workgroup_id_x 1
		.amdhsa_system_sgpr_workgroup_id_y 1
		.amdhsa_system_sgpr_workgroup_id_z 0
		.amdhsa_system_sgpr_workgroup_info 0
		.amdhsa_system_vgpr_workitem_id 1
		.amdhsa_next_free_vgpr 36
		.amdhsa_next_free_sgpr 38
		.amdhsa_named_barrier_count 0
		.amdhsa_reserve_vcc 1
		.amdhsa_float_round_mode_32 0
		.amdhsa_float_round_mode_16_64 0
		.amdhsa_float_denorm_mode_32 3
		.amdhsa_float_denorm_mode_16_64 3
		.amdhsa_fp16_overflow 0
		.amdhsa_memory_ordered 1
		.amdhsa_forward_progress 1
		.amdhsa_inst_pref_size 16
		.amdhsa_round_robin_scheduling 0
		.amdhsa_exception_fp_ieee_invalid_op 0
		.amdhsa_exception_fp_denorm_src 0
		.amdhsa_exception_fp_ieee_div_zero 0
		.amdhsa_exception_fp_ieee_overflow 0
		.amdhsa_exception_fp_ieee_underflow 0
		.amdhsa_exception_fp_ieee_inexact 0
		.amdhsa_exception_int_div_zero 0
	.end_amdhsa_kernel
	.section	.text._ZN9rocsparseL29bsrmm_general_blockdim_kernelILj32ELj32EliaaffEEvb20rocsparse_direction_T2_S2_llNS_24const_host_device_scalarIT6_EEPKT1_PKS2_PKT3_S2_PKT4_llS5_PT5_ll16rocsparse_order_21rocsparse_index_base_b,"axG",@progbits,_ZN9rocsparseL29bsrmm_general_blockdim_kernelILj32ELj32EliaaffEEvb20rocsparse_direction_T2_S2_llNS_24const_host_device_scalarIT6_EEPKT1_PKS2_PKT3_S2_PKT4_llS5_PT5_ll16rocsparse_order_21rocsparse_index_base_b,comdat
.Lfunc_end19:
	.size	_ZN9rocsparseL29bsrmm_general_blockdim_kernelILj32ELj32EliaaffEEvb20rocsparse_direction_T2_S2_llNS_24const_host_device_scalarIT6_EEPKT1_PKS2_PKT3_S2_PKT4_llS5_PT5_ll16rocsparse_order_21rocsparse_index_base_b, .Lfunc_end19-_ZN9rocsparseL29bsrmm_general_blockdim_kernelILj32ELj32EliaaffEEvb20rocsparse_direction_T2_S2_llNS_24const_host_device_scalarIT6_EEPKT1_PKS2_PKT3_S2_PKT4_llS5_PT5_ll16rocsparse_order_21rocsparse_index_base_b
                                        ; -- End function
	.set _ZN9rocsparseL29bsrmm_general_blockdim_kernelILj32ELj32EliaaffEEvb20rocsparse_direction_T2_S2_llNS_24const_host_device_scalarIT6_EEPKT1_PKS2_PKT3_S2_PKT4_llS5_PT5_ll16rocsparse_order_21rocsparse_index_base_b.num_vgpr, 36
	.set _ZN9rocsparseL29bsrmm_general_blockdim_kernelILj32ELj32EliaaffEEvb20rocsparse_direction_T2_S2_llNS_24const_host_device_scalarIT6_EEPKT1_PKS2_PKT3_S2_PKT4_llS5_PT5_ll16rocsparse_order_21rocsparse_index_base_b.num_agpr, 0
	.set _ZN9rocsparseL29bsrmm_general_blockdim_kernelILj32ELj32EliaaffEEvb20rocsparse_direction_T2_S2_llNS_24const_host_device_scalarIT6_EEPKT1_PKS2_PKT3_S2_PKT4_llS5_PT5_ll16rocsparse_order_21rocsparse_index_base_b.numbered_sgpr, 38
	.set _ZN9rocsparseL29bsrmm_general_blockdim_kernelILj32ELj32EliaaffEEvb20rocsparse_direction_T2_S2_llNS_24const_host_device_scalarIT6_EEPKT1_PKS2_PKT3_S2_PKT4_llS5_PT5_ll16rocsparse_order_21rocsparse_index_base_b.num_named_barrier, 0
	.set _ZN9rocsparseL29bsrmm_general_blockdim_kernelILj32ELj32EliaaffEEvb20rocsparse_direction_T2_S2_llNS_24const_host_device_scalarIT6_EEPKT1_PKS2_PKT3_S2_PKT4_llS5_PT5_ll16rocsparse_order_21rocsparse_index_base_b.private_seg_size, 0
	.set _ZN9rocsparseL29bsrmm_general_blockdim_kernelILj32ELj32EliaaffEEvb20rocsparse_direction_T2_S2_llNS_24const_host_device_scalarIT6_EEPKT1_PKS2_PKT3_S2_PKT4_llS5_PT5_ll16rocsparse_order_21rocsparse_index_base_b.uses_vcc, 1
	.set _ZN9rocsparseL29bsrmm_general_blockdim_kernelILj32ELj32EliaaffEEvb20rocsparse_direction_T2_S2_llNS_24const_host_device_scalarIT6_EEPKT1_PKS2_PKT3_S2_PKT4_llS5_PT5_ll16rocsparse_order_21rocsparse_index_base_b.uses_flat_scratch, 0
	.set _ZN9rocsparseL29bsrmm_general_blockdim_kernelILj32ELj32EliaaffEEvb20rocsparse_direction_T2_S2_llNS_24const_host_device_scalarIT6_EEPKT1_PKS2_PKT3_S2_PKT4_llS5_PT5_ll16rocsparse_order_21rocsparse_index_base_b.has_dyn_sized_stack, 0
	.set _ZN9rocsparseL29bsrmm_general_blockdim_kernelILj32ELj32EliaaffEEvb20rocsparse_direction_T2_S2_llNS_24const_host_device_scalarIT6_EEPKT1_PKS2_PKT3_S2_PKT4_llS5_PT5_ll16rocsparse_order_21rocsparse_index_base_b.has_recursion, 0
	.set _ZN9rocsparseL29bsrmm_general_blockdim_kernelILj32ELj32EliaaffEEvb20rocsparse_direction_T2_S2_llNS_24const_host_device_scalarIT6_EEPKT1_PKS2_PKT3_S2_PKT4_llS5_PT5_ll16rocsparse_order_21rocsparse_index_base_b.has_indirect_call, 0
	.section	.AMDGPU.csdata,"",@progbits
; Kernel info:
; codeLenInByte = 1952
; TotalNumSgprs: 40
; NumVgprs: 36
; ScratchSize: 0
; MemoryBound: 0
; FloatMode: 240
; IeeeMode: 1
; LDSByteSize: 8192 bytes/workgroup (compile time only)
; SGPRBlocks: 0
; VGPRBlocks: 2
; NumSGPRsForWavesPerEU: 40
; NumVGPRsForWavesPerEU: 36
; NamedBarCnt: 0
; Occupancy: 16
; WaveLimiterHint : 1
; COMPUTE_PGM_RSRC2:SCRATCH_EN: 0
; COMPUTE_PGM_RSRC2:USER_SGPR: 2
; COMPUTE_PGM_RSRC2:TRAP_HANDLER: 0
; COMPUTE_PGM_RSRC2:TGID_X_EN: 1
; COMPUTE_PGM_RSRC2:TGID_Y_EN: 1
; COMPUTE_PGM_RSRC2:TGID_Z_EN: 0
; COMPUTE_PGM_RSRC2:TIDIG_COMP_CNT: 1
	.section	.text._ZN9rocsparseL29bsrmm_general_blockdim_kernelILj32ELj32EllaaffEEvb20rocsparse_direction_T2_S2_llNS_24const_host_device_scalarIT6_EEPKT1_PKS2_PKT3_S2_PKT4_llS5_PT5_ll16rocsparse_order_21rocsparse_index_base_b,"axG",@progbits,_ZN9rocsparseL29bsrmm_general_blockdim_kernelILj32ELj32EllaaffEEvb20rocsparse_direction_T2_S2_llNS_24const_host_device_scalarIT6_EEPKT1_PKS2_PKT3_S2_PKT4_llS5_PT5_ll16rocsparse_order_21rocsparse_index_base_b,comdat
	.globl	_ZN9rocsparseL29bsrmm_general_blockdim_kernelILj32ELj32EllaaffEEvb20rocsparse_direction_T2_S2_llNS_24const_host_device_scalarIT6_EEPKT1_PKS2_PKT3_S2_PKT4_llS5_PT5_ll16rocsparse_order_21rocsparse_index_base_b ; -- Begin function _ZN9rocsparseL29bsrmm_general_blockdim_kernelILj32ELj32EllaaffEEvb20rocsparse_direction_T2_S2_llNS_24const_host_device_scalarIT6_EEPKT1_PKS2_PKT3_S2_PKT4_llS5_PT5_ll16rocsparse_order_21rocsparse_index_base_b
	.p2align	8
	.type	_ZN9rocsparseL29bsrmm_general_blockdim_kernelILj32ELj32EllaaffEEvb20rocsparse_direction_T2_S2_llNS_24const_host_device_scalarIT6_EEPKT1_PKS2_PKT3_S2_PKT4_llS5_PT5_ll16rocsparse_order_21rocsparse_index_base_b,@function
_ZN9rocsparseL29bsrmm_general_blockdim_kernelILj32ELj32EllaaffEEvb20rocsparse_direction_T2_S2_llNS_24const_host_device_scalarIT6_EEPKT1_PKS2_PKT3_S2_PKT4_llS5_PT5_ll16rocsparse_order_21rocsparse_index_base_b: ; @_ZN9rocsparseL29bsrmm_general_blockdim_kernelILj32ELj32EllaaffEEvb20rocsparse_direction_T2_S2_llNS_24const_host_device_scalarIT6_EEPKT1_PKS2_PKT3_S2_PKT4_llS5_PT5_ll16rocsparse_order_21rocsparse_index_base_b
; %bb.0:
	s_clause 0x2
	s_load_b96 s[16:18], s[0:1], 0x88
	s_load_b64 s[20:21], s[0:1], 0x28
	s_load_b64 s[22:23], s[0:1], 0x68
	s_wait_kmcnt 0x0
	s_bitcmp1_b32 s18, 0
	s_cselect_b32 s2, -1, 0
	s_delay_alu instid0(SALU_CYCLE_1)
	s_and_b32 vcc_lo, exec_lo, s2
	s_xor_b32 s2, s2, -1
	s_cbranch_vccnz .LBB20_2
; %bb.1:
	s_load_b32 s20, s[20:21], 0x0
.LBB20_2:
	s_and_not1_b32 vcc_lo, exec_lo, s2
	s_cbranch_vccnz .LBB20_4
; %bb.3:
	s_load_b32 s22, s[22:23], 0x0
.LBB20_4:
	s_wait_kmcnt 0x0
	s_cmp_eq_f32 s20, 0
	s_cselect_b32 s2, -1, 0
	s_cmp_eq_f32 s22, 1.0
	s_cselect_b32 s3, -1, 0
	s_delay_alu instid0(SALU_CYCLE_1) | instskip(NEXT) | instid1(SALU_CYCLE_1)
	s_and_b32 s2, s2, s3
	s_and_b32 vcc_lo, exec_lo, s2
	s_cbranch_vccnz .LBB20_53
; %bb.5:
	s_clause 0x1
	s_load_b128 s[12:15], s[0:1], 0x8
	s_load_b64 s[2:3], s[0:1], 0x30
	s_bfe_u32 s4, ttmp6, 0x4000c
	s_and_b32 s5, ttmp6, 15
	s_add_co_i32 s4, s4, 1
	s_getreg_b32 s8, hwreg(HW_REG_IB_STS2, 6, 4)
	s_mul_i32 s4, ttmp9, s4
	s_mov_b64 s[18:19], 0
	s_add_co_i32 s5, s5, s4
	s_cmp_eq_u32 s8, 0
	s_mov_b64 s[24:25], 0
	s_cselect_b32 s28, ttmp9, s5
	s_delay_alu instid0(SALU_CYCLE_1)
	s_ashr_i32 s29, s28, 31
	s_wait_kmcnt 0x0
	v_cmp_le_i64_e64 s4, s[12:13], s[28:29]
	v_cmp_gt_i64_e64 s12, s[12:13], s[28:29]
	s_and_b32 vcc_lo, exec_lo, s4
	s_cbranch_vccz .LBB20_8
; %bb.6:
	s_and_not1_b32 vcc_lo, exec_lo, s12
	s_cbranch_vccz .LBB20_9
.LBB20_7:
	s_load_b64 s[26:27], s[0:1], 0x48
	s_wait_kmcnt 0x0
	v_cmp_lt_i64_e64 s2, s[26:27], 1
	s_and_b32 vcc_lo, exec_lo, s2
	s_cbranch_vccz .LBB20_10
	s_branch .LBB20_53
.LBB20_8:
	s_lshl_b64 s[4:5], s[28:29], 3
	s_mov_b32 s7, 0
	s_add_nc_u64 s[4:5], s[2:3], s[4:5]
	s_mov_b32 s6, s17
	s_load_b64 s[4:5], s[4:5], 0x0
	s_wait_kmcnt 0x0
	s_sub_nc_u64 s[24:25], s[4:5], s[6:7]
	s_and_not1_b32 vcc_lo, exec_lo, s12
	s_cbranch_vccnz .LBB20_7
.LBB20_9:
	s_lshl_b64 s[4:5], s[28:29], 3
	s_delay_alu instid0(SALU_CYCLE_1)
	s_add_nc_u64 s[2:3], s[2:3], s[4:5]
	s_mov_b32 s5, 0
	s_load_b64 s[2:3], s[2:3], 0x8
	s_mov_b32 s4, s17
	s_wait_kmcnt 0x0
	s_sub_nc_u64 s[18:19], s[2:3], s[4:5]
	s_load_b64 s[26:27], s[0:1], 0x48
	s_wait_kmcnt 0x0
	v_cmp_lt_i64_e64 s2, s[26:27], 1
	s_and_b32 vcc_lo, exec_lo, s2
	s_cbranch_vccnz .LBB20_53
.LBB20_10:
	s_clause 0x1
	s_load_b64 s[30:31], s[0:1], 0x0
	s_load_b128 s[4:7], s[0:1], 0x70
	s_bfe_u32 s2, ttmp6, 0x40010
	s_bfe_u32 s3, ttmp6, 0x40004
	s_add_co_i32 s2, s2, 1
	v_bfe_u32 v2, v0, 10, 10
	s_mul_i32 s2, ttmp7, s2
	v_mov_b32_e32 v11, 0
	s_add_co_i32 s3, s3, s2
	s_cmp_eq_u32 s8, 0
	v_and_b32_e32 v0, 0x3ff, v0
	s_cselect_b32 s2, ttmp7, s3
	v_mov_b32_e32 v1, v11
	v_lshl_add_u32 v10, s2, 5, v2
	s_mov_b64 s[34:35], 0xffffffff
	s_load_b128 s[8:11], s[0:1], 0x50
	v_lshlrev_b32_e32 v31, 7, v2
	v_mad_nc_u64_u32 v[6:7], s24, s26, v[0:1]
	v_cmp_gt_i64_e64 s2, s[14:15], v[10:11]
	v_cmp_lt_i64_e64 s38, s[24:25], s[18:19]
	s_wait_kmcnt 0x0
	s_bitcmp1_b32 s30, 0
	v_lshlrev_b32_e32 v30, 2, v0
	s_cselect_b32 s3, -1, 0
	s_and_b64 s[34:35], s[28:29], s[34:35]
	s_xor_b32 s3, s3, -1
	s_cmp_lg_u32 s31, 0
	s_mov_b32 s29, 0
	s_cselect_b32 s21, -1, 0
	s_and_b32 s23, s12, s2
	s_cmp_neq_f32 s22, 0
	s_load_b128 s[12:15], s[0:1], 0x38
	s_wait_xcnt 0x0
	s_mul_i32 s0, s25, s26
	s_mul_u64 s[30:31], s[26:27], s[34:35]
	s_cselect_b32 s1, -1, 0
	s_cmp_lg_u32 s16, 1
	s_mul_i32 s16, s24, s27
	s_cselect_b32 s33, -1, 0
	s_add_co_i32 s16, s16, s0
	v_mad_nc_u64_u32 v[4:5], s10, v10, s[8:9]
	v_dual_add_nc_u32 v7, s16, v7 :: v_dual_mov_b32 v3, v11
	v_mul_u64_e32 v[12:13], s[6:7], v[10:11]
	s_mov_b32 s28, s17
	v_or_b32_e32 v18, 0x1000, v30
	v_add_nc_u32_e32 v33, v30, v31
	v_mad_nc_u64_u32 v[8:9], s24, s26, v[2:3]
	v_mad_nc_u64_u32 v[14:15], s26, v6, v[2:3]
	v_add_nc_u32_e32 v34, 0x400, v30
	v_add_nc_u32_e32 v35, 0x800, v30
	v_mad_u32 v5, s11, v10, v5
	v_add_nc_u32_e32 v36, 0xc00, v30
	v_add_nc_u32_e32 v32, v18, v31
	v_mad_nc_u64_u32 v[16:17], s26, v8, v[0:1]
	v_mad_u32 v6, s27, v6, v15
	v_add_nc_u32_e32 v9, s16, v9
	s_mov_b64 s[16:17], 0
	s_delay_alu instid0(VALU_DEP_3) | instskip(NEXT) | instid1(VALU_DEP_3)
	v_mad_u32 v8, s27, v8, v17
	v_mad_u32 v15, s26, v7, v6
	v_lshl_add_u64 v[6:7], v[10:11], 2, s[4:5]
	v_add_nc_u64_e32 v[10:11], s[8:9], v[10:11]
	s_lshl_b64 s[8:9], s[26:27], 5
	s_delay_alu instid0(VALU_DEP_4) | instskip(SKIP_4) | instid1(VALU_DEP_3)
	v_mad_u32 v17, s26, v9, v8
	v_lshl_add_u64 v[8:9], v[12:13], 2, s[4:5]
	s_wait_kmcnt 0x0
	v_add_nc_u64_e32 v[12:13], s[14:15], v[14:15]
	s_lshl_b64 s[4:5], s[10:11], 5
	v_add_nc_u64_e32 v[14:15], s[14:15], v[16:17]
	s_mul_u64 s[14:15], s[26:27], s[26:27]
	s_branch .LBB20_12
.LBB20_11:                              ;   in Loop: Header=BB20_12 Depth=1
	s_wait_xcnt 0x0
	s_or_b32 exec_lo, exec_lo, s0
	s_add_nc_u64 s[16:17], s[16:17], 32
	v_add_nc_u64_e32 v[12:13], s[8:9], v[12:13]
	v_cmp_lt_i64_e64 s0, s[16:17], s[26:27]
	v_add_nc_u64_e32 v[14:15], 32, v[14:15]
	s_and_b32 vcc_lo, exec_lo, s0
	s_cbranch_vccz .LBB20_53
.LBB20_12:                              ; =>This Loop Header: Depth=1
                                        ;     Child Loop BB20_15 Depth 2
                                        ;       Child Loop BB20_19 Depth 3
	v_add_nc_u64_e32 v[16:17], s[16:17], v[0:1]
	v_mov_b32_e32 v37, 0
	s_and_not1_b32 vcc_lo, exec_lo, s38
	s_delay_alu instid0(VALU_DEP_2)
	v_cmp_gt_i64_e64 s0, s[26:27], v[16:17]
	s_cbranch_vccnz .LBB20_41
; %bb.13:                               ;   in Loop: Header=BB20_12 Depth=1
	v_mov_b64_e32 v[18:19], v[14:15]
	v_mov_b64_e32 v[20:21], v[12:13]
	v_mov_b32_e32 v37, 0
	s_mov_b64 s[34:35], s[24:25]
	s_branch .LBB20_15
.LBB20_14:                              ;   in Loop: Header=BB20_15 Depth=2
	s_add_nc_u64 s[34:35], s[34:35], 1
	v_add_nc_u64_e32 v[20:21], s[14:15], v[20:21]
	v_cmp_ge_i64_e64 s36, s[34:35], s[18:19]
	v_add_nc_u64_e32 v[18:19], s[14:15], v[18:19]
	s_and_b32 vcc_lo, exec_lo, s36
	s_cbranch_vccnz .LBB20_41
.LBB20_15:                              ;   Parent Loop BB20_12 Depth=1
                                        ; =>  This Loop Header: Depth=2
                                        ;       Child Loop BB20_19 Depth 3
	s_lshl_b64 s[36:37], s[34:35], 3
	v_mov_b64_e32 v[28:29], v[0:1]
	s_add_nc_u64 s[36:37], s[12:13], s[36:37]
	s_load_b64 s[36:37], s[36:37], 0x0
	s_wait_kmcnt 0x0
	s_wait_xcnt 0x0
	s_sub_nc_u64 s[36:37], s[36:37], s[28:29]
	s_delay_alu instid0(SALU_CYCLE_1) | instskip(SKIP_3) | instid1(SALU_CYCLE_1)
	v_mad_nc_u64_u32 v[26:27], s36, s26, v[0:1]
	v_mad_nc_u64_u32 v[24:25], s36, s26, v[4:5]
	s_mul_i32 s37, s37, s26
	s_mul_i32 s39, s36, s27
	s_add_co_i32 s39, s39, s37
	s_mov_b64 s[36:37], 0
	s_delay_alu instid0(VALU_DEP_2) | instskip(NEXT) | instid1(VALU_DEP_2)
	v_mad_nc_u64_u32 v[22:23], s10, v26, v[10:11]
	v_add_nc_u32_e32 v25, s39, v25
	s_delay_alu instid0(VALU_DEP_2) | instskip(SKIP_1) | instid1(VALU_DEP_1)
	v_mad_u32 v23, s11, v26, v23
	v_add_nc_u32_e32 v26, s39, v27
	v_mad_u32 v23, s10, v26, v23
	v_mov_b64_e32 v[26:27], v[18:19]
	s_branch .LBB20_19
.LBB20_16:                              ;   in Loop: Header=BB20_19 Depth=3
	s_or_b32 exec_lo, exec_lo, s40
.LBB20_17:                              ;   in Loop: Header=BB20_19 Depth=3
	s_delay_alu instid0(SALU_CYCLE_1)
	s_or_b32 exec_lo, exec_lo, s39
.LBB20_18:                              ;   in Loop: Header=BB20_19 Depth=3
	ds_store_b32 v33, v38
	s_wait_dscnt 0x0
	s_barrier_signal -1
	s_barrier_wait -1
	ds_load_2addr_b32 v[46:47], v30 offset1:32
	ds_load_b128 v[38:41], v31 offset:4096
	ds_load_2addr_b32 v[48:49], v30 offset0:64 offset1:96
	ds_load_b128 v[42:45], v31 offset:4112
	ds_load_2addr_b32 v[50:51], v30 offset0:128 offset1:160
	s_add_nc_u64 s[36:37], s[36:37], 32
	v_add_nc_u64_e32 v[28:29], 32, v[28:29]
	v_cmp_ge_i64_e64 s39, s[36:37], s[26:27]
	v_add_nc_u64_e32 v[22:23], s[4:5], v[22:23]
	v_add_nc_u64_e32 v[26:27], s[8:9], v[26:27]
	s_and_b32 vcc_lo, exec_lo, s39
	s_wait_dscnt 0x3
	v_fmac_f32_e32 v37, v46, v38
	s_delay_alu instid0(VALU_DEP_1) | instskip(SKIP_3) | instid1(VALU_DEP_1)
	v_fmac_f32_e32 v37, v47, v39
	ds_load_2addr_b32 v[46:47], v30 offset0:192 offset1:224
	s_wait_dscnt 0x3
	v_fmac_f32_e32 v37, v48, v40
	v_fmac_f32_e32 v37, v49, v41
	ds_load_b128 v[38:41], v31 offset:4128
	ds_load_2addr_b32 v[48:49], v34 offset1:32
	s_wait_dscnt 0x3
	v_fmac_f32_e32 v37, v50, v42
	s_delay_alu instid0(VALU_DEP_1) | instskip(SKIP_3) | instid1(VALU_DEP_1)
	v_fmac_f32_e32 v37, v51, v43
	ds_load_2addr_b32 v[50:51], v34 offset0:64 offset1:96
	s_wait_dscnt 0x3
	v_fmac_f32_e32 v37, v46, v44
	v_fmac_f32_e32 v37, v47, v45
	ds_load_b128 v[42:45], v31 offset:4144
	ds_load_2addr_b32 v[46:47], v34 offset0:128 offset1:160
	s_wait_dscnt 0x3
	v_fmac_f32_e32 v37, v48, v38
	s_delay_alu instid0(VALU_DEP_1) | instskip(SKIP_3) | instid1(VALU_DEP_1)
	v_fmac_f32_e32 v37, v49, v39
	ds_load_2addr_b32 v[48:49], v34 offset0:192 offset1:224
	s_wait_dscnt 0x3
	v_fmac_f32_e32 v37, v50, v40
	v_fmac_f32_e32 v37, v51, v41
	ds_load_2addr_b32 v[50:51], v35 offset1:32
	ds_load_b128 v[38:41], v31 offset:4160
	s_wait_dscnt 0x3
	v_fmac_f32_e32 v37, v46, v42
	s_delay_alu instid0(VALU_DEP_1) | instskip(SKIP_3) | instid1(VALU_DEP_1)
	v_fmac_f32_e32 v37, v47, v43
	ds_load_2addr_b32 v[46:47], v35 offset0:64 offset1:96
	s_wait_dscnt 0x3
	v_fmac_f32_e32 v37, v48, v44
	v_fmac_f32_e32 v37, v49, v45
	ds_load_2addr_b32 v[48:49], v35 offset0:128 offset1:160
	ds_load_b128 v[42:45], v31 offset:4176
	s_wait_dscnt 0x3
	v_fmac_f32_e32 v37, v50, v38
	s_delay_alu instid0(VALU_DEP_1) | instskip(SKIP_3) | instid1(VALU_DEP_1)
	v_fmac_f32_e32 v37, v51, v39
	ds_load_2addr_b32 v[50:51], v35 offset0:192 offset1:224
	s_wait_dscnt 0x3
	v_fmac_f32_e32 v37, v46, v40
	v_fmac_f32_e32 v37, v47, v41
	ds_load_2addr_b32 v[46:47], v36 offset1:32
	ds_load_b128 v[38:41], v31 offset:4192
	s_wait_dscnt 0x3
	v_fmac_f32_e32 v37, v48, v42
	s_delay_alu instid0(VALU_DEP_1) | instskip(SKIP_3) | instid1(VALU_DEP_1)
	v_fmac_f32_e32 v37, v49, v43
	ds_load_2addr_b32 v[48:49], v36 offset0:64 offset1:96
	s_wait_dscnt 0x3
	v_fmac_f32_e32 v37, v50, v44
	v_fmac_f32_e32 v37, v51, v45
	ds_load_2addr_b32 v[50:51], v36 offset0:128 offset1:160
	ds_load_b128 v[42:45], v31 offset:4208
	s_wait_dscnt 0x3
	v_fmac_f32_e32 v37, v46, v38
	s_delay_alu instid0(VALU_DEP_1)
	v_fmac_f32_e32 v37, v47, v39
	ds_load_2addr_b32 v[38:39], v36 offset0:192 offset1:224
	s_wait_dscnt 0x0
	s_barrier_signal -1
	s_barrier_wait -1
	v_fmac_f32_e32 v37, v48, v40
	s_delay_alu instid0(VALU_DEP_1) | instskip(NEXT) | instid1(VALU_DEP_1)
	v_fmac_f32_e32 v37, v49, v41
	v_fmac_f32_e32 v37, v50, v42
	s_delay_alu instid0(VALU_DEP_1) | instskip(NEXT) | instid1(VALU_DEP_1)
	v_fmac_f32_e32 v37, v51, v43
	v_fmac_f32_e32 v37, v38, v44
	s_delay_alu instid0(VALU_DEP_1)
	v_fmac_f32_e32 v37, v39, v45
	s_cbranch_vccnz .LBB20_14
.LBB20_19:                              ;   Parent Loop BB20_12 Depth=1
                                        ;     Parent Loop BB20_15 Depth=2
                                        ; =>    This Inner Loop Header: Depth=3
	s_and_b32 vcc_lo, exec_lo, s3
	s_mov_b32 s39, -1
                                        ; implicit-def: $vgpr38
	s_cbranch_vccnz .LBB20_27
; %bb.20:                               ;   in Loop: Header=BB20_19 Depth=3
	s_and_not1_b32 vcc_lo, exec_lo, s39
	s_cbranch_vccz .LBB20_32
.LBB20_21:                              ;   in Loop: Header=BB20_19 Depth=3
	s_and_b32 vcc_lo, exec_lo, s21
	ds_store_b32 v32, v38
	s_cbranch_vccz .LBB20_37
.LBB20_22:                              ;   in Loop: Header=BB20_19 Depth=3
	v_mov_b32_e32 v38, 0
	s_and_saveexec_b32 s39, s0
	s_cbranch_execz .LBB20_26
; %bb.23:                               ;   in Loop: Header=BB20_19 Depth=3
	v_add_nc_u64_e32 v[38:39], s[36:37], v[2:3]
	s_delay_alu instid0(VALU_DEP_1)
	v_cmp_gt_i64_e32 vcc_lo, s[26:27], v[38:39]
	v_mov_b32_e32 v38, 0
	s_and_saveexec_b32 s40, vcc_lo
	s_cbranch_execz .LBB20_25
; %bb.24:                               ;   in Loop: Header=BB20_19 Depth=3
	global_load_i8 v38, v[26:27], off
	s_wait_loadcnt 0x0
	v_cvt_f32_i32_e32 v38, v38
.LBB20_25:                              ;   in Loop: Header=BB20_19 Depth=3
	s_wait_xcnt 0x0
	s_or_b32 exec_lo, exec_lo, s40
.LBB20_26:                              ;   in Loop: Header=BB20_19 Depth=3
	s_delay_alu instid0(SALU_CYCLE_1)
	s_or_b32 exec_lo, exec_lo, s39
	s_cbranch_execnz .LBB20_18
	s_branch .LBB20_38
.LBB20_27:                              ;   in Loop: Header=BB20_19 Depth=3
	v_mov_b32_e32 v38, 0
	s_and_saveexec_b32 s39, s2
	s_cbranch_execz .LBB20_31
; %bb.28:                               ;   in Loop: Header=BB20_19 Depth=3
	v_mov_b32_e32 v38, 0
	s_mov_b32 s40, exec_lo
	v_cmpx_gt_i64_e64 s[26:27], v[28:29]
	s_cbranch_execz .LBB20_30
; %bb.29:                               ;   in Loop: Header=BB20_19 Depth=3
	global_load_i8 v38, v[22:23], off
	s_wait_loadcnt 0x0
	v_cvt_f32_i32_e32 v38, v38
.LBB20_30:                              ;   in Loop: Header=BB20_19 Depth=3
	s_wait_xcnt 0x0
	s_or_b32 exec_lo, exec_lo, s40
.LBB20_31:                              ;   in Loop: Header=BB20_19 Depth=3
	s_delay_alu instid0(SALU_CYCLE_1)
	s_or_b32 exec_lo, exec_lo, s39
	s_cbranch_execnz .LBB20_21
.LBB20_32:                              ;   in Loop: Header=BB20_19 Depth=3
	v_mov_b32_e32 v38, 0
	s_and_saveexec_b32 s39, s2
	s_cbranch_execz .LBB20_36
; %bb.33:                               ;   in Loop: Header=BB20_19 Depth=3
	v_mov_b32_e32 v38, 0
	s_mov_b32 s40, exec_lo
	v_cmpx_gt_i64_e64 s[26:27], v[28:29]
	s_cbranch_execz .LBB20_35
; %bb.34:                               ;   in Loop: Header=BB20_19 Depth=3
	v_add_nc_u64_e32 v[38:39], v[24:25], v[28:29]
	global_load_i8 v38, v[38:39], off
	s_wait_loadcnt 0x0
	s_wait_xcnt 0x0
	v_cvt_f32_i32_e32 v38, v38
.LBB20_35:                              ;   in Loop: Header=BB20_19 Depth=3
	s_or_b32 exec_lo, exec_lo, s40
.LBB20_36:                              ;   in Loop: Header=BB20_19 Depth=3
	s_delay_alu instid0(SALU_CYCLE_1) | instskip(NEXT) | instid1(SALU_CYCLE_1)
	s_or_b32 exec_lo, exec_lo, s39
	s_and_b32 vcc_lo, exec_lo, s21
	ds_store_b32 v32, v38
	s_cbranch_vccnz .LBB20_22
.LBB20_37:                              ;   in Loop: Header=BB20_19 Depth=3
                                        ; implicit-def: $vgpr38
.LBB20_38:                              ;   in Loop: Header=BB20_19 Depth=3
	v_mov_b32_e32 v38, 0
	s_and_saveexec_b32 s39, s0
	s_cbranch_execz .LBB20_17
; %bb.39:                               ;   in Loop: Header=BB20_19 Depth=3
	v_add_nc_u64_e32 v[38:39], s[36:37], v[2:3]
	s_delay_alu instid0(VALU_DEP_1)
	v_cmp_gt_i64_e32 vcc_lo, s[26:27], v[38:39]
	v_mov_b32_e32 v38, 0
	s_and_saveexec_b32 s40, vcc_lo
	s_cbranch_execz .LBB20_16
; %bb.40:                               ;   in Loop: Header=BB20_19 Depth=3
	v_add_nc_u64_e32 v[38:39], s[36:37], v[20:21]
	global_load_i8 v38, v[38:39], off
	s_wait_loadcnt 0x0
	s_wait_xcnt 0x0
	v_cvt_f32_i32_e32 v38, v38
	s_branch .LBB20_16
.LBB20_41:                              ;   in Loop: Header=BB20_12 Depth=1
	v_cmp_gt_i64_e32 vcc_lo, s[26:27], v[16:17]
	s_and_b32 s34, s23, vcc_lo
	s_delay_alu instid0(SALU_CYCLE_1)
	s_and_saveexec_b32 s0, s34
	s_cbranch_execz .LBB20_11
; %bb.42:                               ;   in Loop: Header=BB20_12 Depth=1
	v_add_nc_u64_e32 v[16:17], s[30:31], v[16:17]
	s_and_b32 vcc_lo, exec_lo, s1
	s_cbranch_vccz .LBB20_48
; %bb.43:                               ;   in Loop: Header=BB20_12 Depth=1
	s_and_b32 vcc_lo, exec_lo, s33
	s_mov_b32 s34, -1
	s_cbranch_vccz .LBB20_45
; %bb.44:                               ;   in Loop: Header=BB20_12 Depth=1
	s_delay_alu instid0(VALU_DEP_1) | instskip(SKIP_2) | instid1(VALU_DEP_2)
	v_mul_u64_e32 v[18:19], s[6:7], v[16:17]
	v_mul_f32_e32 v21, s20, v37
	s_mov_b32 s34, 0
	v_lshl_add_u64 v[18:19], v[18:19], 2, v[6:7]
	global_load_b32 v20, v[18:19], off
	s_wait_loadcnt 0x0
	v_fmac_f32_e32 v21, s22, v20
	global_store_b32 v[18:19], v21, off
.LBB20_45:                              ;   in Loop: Header=BB20_12 Depth=1
	s_and_not1_b32 vcc_lo, exec_lo, s34
	s_cbranch_vccnz .LBB20_47
; %bb.46:                               ;   in Loop: Header=BB20_12 Depth=1
	s_wait_xcnt 0x0
	v_lshl_add_u64 v[18:19], v[16:17], 2, v[8:9]
	v_mul_f32_e32 v21, s20, v37
	global_load_b32 v20, v[18:19], off
	s_wait_loadcnt 0x0
	v_fmac_f32_e32 v21, s22, v20
	global_store_b32 v[18:19], v21, off
.LBB20_47:                              ;   in Loop: Header=BB20_12 Depth=1
	s_cbranch_execnz .LBB20_11
	s_branch .LBB20_49
.LBB20_48:                              ;   in Loop: Header=BB20_12 Depth=1
.LBB20_49:                              ;   in Loop: Header=BB20_12 Depth=1
	s_wait_xcnt 0x0
	v_mul_f32_e32 v18, s20, v37
	s_and_b32 vcc_lo, exec_lo, s33
	s_mov_b32 s34, -1
	s_cbranch_vccz .LBB20_51
; %bb.50:                               ;   in Loop: Header=BB20_12 Depth=1
	v_mul_u64_e32 v[20:21], s[6:7], v[16:17]
	s_mov_b32 s34, 0
	s_delay_alu instid0(VALU_DEP_1)
	v_lshl_add_u64 v[20:21], v[20:21], 2, v[6:7]
	global_store_b32 v[20:21], v18, off
.LBB20_51:                              ;   in Loop: Header=BB20_12 Depth=1
	s_and_not1_b32 vcc_lo, exec_lo, s34
	s_cbranch_vccnz .LBB20_11
; %bb.52:                               ;   in Loop: Header=BB20_12 Depth=1
	v_lshl_add_u64 v[16:17], v[16:17], 2, v[8:9]
	global_store_b32 v[16:17], v18, off
	s_branch .LBB20_11
.LBB20_53:
	s_endpgm
	.section	.rodata,"a",@progbits
	.p2align	6, 0x0
	.amdhsa_kernel _ZN9rocsparseL29bsrmm_general_blockdim_kernelILj32ELj32EllaaffEEvb20rocsparse_direction_T2_S2_llNS_24const_host_device_scalarIT6_EEPKT1_PKS2_PKT3_S2_PKT4_llS5_PT5_ll16rocsparse_order_21rocsparse_index_base_b
		.amdhsa_group_segment_fixed_size 8192
		.amdhsa_private_segment_fixed_size 0
		.amdhsa_kernarg_size 148
		.amdhsa_user_sgpr_count 2
		.amdhsa_user_sgpr_dispatch_ptr 0
		.amdhsa_user_sgpr_queue_ptr 0
		.amdhsa_user_sgpr_kernarg_segment_ptr 1
		.amdhsa_user_sgpr_dispatch_id 0
		.amdhsa_user_sgpr_kernarg_preload_length 0
		.amdhsa_user_sgpr_kernarg_preload_offset 0
		.amdhsa_user_sgpr_private_segment_size 0
		.amdhsa_wavefront_size32 1
		.amdhsa_uses_dynamic_stack 0
		.amdhsa_enable_private_segment 0
		.amdhsa_system_sgpr_workgroup_id_x 1
		.amdhsa_system_sgpr_workgroup_id_y 1
		.amdhsa_system_sgpr_workgroup_id_z 0
		.amdhsa_system_sgpr_workgroup_info 0
		.amdhsa_system_vgpr_workitem_id 1
		.amdhsa_next_free_vgpr 52
		.amdhsa_next_free_sgpr 41
		.amdhsa_named_barrier_count 0
		.amdhsa_reserve_vcc 1
		.amdhsa_float_round_mode_32 0
		.amdhsa_float_round_mode_16_64 0
		.amdhsa_float_denorm_mode_32 3
		.amdhsa_float_denorm_mode_16_64 3
		.amdhsa_fp16_overflow 0
		.amdhsa_memory_ordered 1
		.amdhsa_forward_progress 1
		.amdhsa_inst_pref_size 17
		.amdhsa_round_robin_scheduling 0
		.amdhsa_exception_fp_ieee_invalid_op 0
		.amdhsa_exception_fp_denorm_src 0
		.amdhsa_exception_fp_ieee_div_zero 0
		.amdhsa_exception_fp_ieee_overflow 0
		.amdhsa_exception_fp_ieee_underflow 0
		.amdhsa_exception_fp_ieee_inexact 0
		.amdhsa_exception_int_div_zero 0
	.end_amdhsa_kernel
	.section	.text._ZN9rocsparseL29bsrmm_general_blockdim_kernelILj32ELj32EllaaffEEvb20rocsparse_direction_T2_S2_llNS_24const_host_device_scalarIT6_EEPKT1_PKS2_PKT3_S2_PKT4_llS5_PT5_ll16rocsparse_order_21rocsparse_index_base_b,"axG",@progbits,_ZN9rocsparseL29bsrmm_general_blockdim_kernelILj32ELj32EllaaffEEvb20rocsparse_direction_T2_S2_llNS_24const_host_device_scalarIT6_EEPKT1_PKS2_PKT3_S2_PKT4_llS5_PT5_ll16rocsparse_order_21rocsparse_index_base_b,comdat
.Lfunc_end20:
	.size	_ZN9rocsparseL29bsrmm_general_blockdim_kernelILj32ELj32EllaaffEEvb20rocsparse_direction_T2_S2_llNS_24const_host_device_scalarIT6_EEPKT1_PKS2_PKT3_S2_PKT4_llS5_PT5_ll16rocsparse_order_21rocsparse_index_base_b, .Lfunc_end20-_ZN9rocsparseL29bsrmm_general_blockdim_kernelILj32ELj32EllaaffEEvb20rocsparse_direction_T2_S2_llNS_24const_host_device_scalarIT6_EEPKT1_PKS2_PKT3_S2_PKT4_llS5_PT5_ll16rocsparse_order_21rocsparse_index_base_b
                                        ; -- End function
	.set _ZN9rocsparseL29bsrmm_general_blockdim_kernelILj32ELj32EllaaffEEvb20rocsparse_direction_T2_S2_llNS_24const_host_device_scalarIT6_EEPKT1_PKS2_PKT3_S2_PKT4_llS5_PT5_ll16rocsparse_order_21rocsparse_index_base_b.num_vgpr, 52
	.set _ZN9rocsparseL29bsrmm_general_blockdim_kernelILj32ELj32EllaaffEEvb20rocsparse_direction_T2_S2_llNS_24const_host_device_scalarIT6_EEPKT1_PKS2_PKT3_S2_PKT4_llS5_PT5_ll16rocsparse_order_21rocsparse_index_base_b.num_agpr, 0
	.set _ZN9rocsparseL29bsrmm_general_blockdim_kernelILj32ELj32EllaaffEEvb20rocsparse_direction_T2_S2_llNS_24const_host_device_scalarIT6_EEPKT1_PKS2_PKT3_S2_PKT4_llS5_PT5_ll16rocsparse_order_21rocsparse_index_base_b.numbered_sgpr, 41
	.set _ZN9rocsparseL29bsrmm_general_blockdim_kernelILj32ELj32EllaaffEEvb20rocsparse_direction_T2_S2_llNS_24const_host_device_scalarIT6_EEPKT1_PKS2_PKT3_S2_PKT4_llS5_PT5_ll16rocsparse_order_21rocsparse_index_base_b.num_named_barrier, 0
	.set _ZN9rocsparseL29bsrmm_general_blockdim_kernelILj32ELj32EllaaffEEvb20rocsparse_direction_T2_S2_llNS_24const_host_device_scalarIT6_EEPKT1_PKS2_PKT3_S2_PKT4_llS5_PT5_ll16rocsparse_order_21rocsparse_index_base_b.private_seg_size, 0
	.set _ZN9rocsparseL29bsrmm_general_blockdim_kernelILj32ELj32EllaaffEEvb20rocsparse_direction_T2_S2_llNS_24const_host_device_scalarIT6_EEPKT1_PKS2_PKT3_S2_PKT4_llS5_PT5_ll16rocsparse_order_21rocsparse_index_base_b.uses_vcc, 1
	.set _ZN9rocsparseL29bsrmm_general_blockdim_kernelILj32ELj32EllaaffEEvb20rocsparse_direction_T2_S2_llNS_24const_host_device_scalarIT6_EEPKT1_PKS2_PKT3_S2_PKT4_llS5_PT5_ll16rocsparse_order_21rocsparse_index_base_b.uses_flat_scratch, 0
	.set _ZN9rocsparseL29bsrmm_general_blockdim_kernelILj32ELj32EllaaffEEvb20rocsparse_direction_T2_S2_llNS_24const_host_device_scalarIT6_EEPKT1_PKS2_PKT3_S2_PKT4_llS5_PT5_ll16rocsparse_order_21rocsparse_index_base_b.has_dyn_sized_stack, 0
	.set _ZN9rocsparseL29bsrmm_general_blockdim_kernelILj32ELj32EllaaffEEvb20rocsparse_direction_T2_S2_llNS_24const_host_device_scalarIT6_EEPKT1_PKS2_PKT3_S2_PKT4_llS5_PT5_ll16rocsparse_order_21rocsparse_index_base_b.has_recursion, 0
	.set _ZN9rocsparseL29bsrmm_general_blockdim_kernelILj32ELj32EllaaffEEvb20rocsparse_direction_T2_S2_llNS_24const_host_device_scalarIT6_EEPKT1_PKS2_PKT3_S2_PKT4_llS5_PT5_ll16rocsparse_order_21rocsparse_index_base_b.has_indirect_call, 0
	.section	.AMDGPU.csdata,"",@progbits
; Kernel info:
; codeLenInByte = 2084
; TotalNumSgprs: 43
; NumVgprs: 52
; ScratchSize: 0
; MemoryBound: 0
; FloatMode: 240
; IeeeMode: 1
; LDSByteSize: 8192 bytes/workgroup (compile time only)
; SGPRBlocks: 0
; VGPRBlocks: 3
; NumSGPRsForWavesPerEU: 43
; NumVGPRsForWavesPerEU: 52
; NamedBarCnt: 0
; Occupancy: 16
; WaveLimiterHint : 1
; COMPUTE_PGM_RSRC2:SCRATCH_EN: 0
; COMPUTE_PGM_RSRC2:USER_SGPR: 2
; COMPUTE_PGM_RSRC2:TRAP_HANDLER: 0
; COMPUTE_PGM_RSRC2:TGID_X_EN: 1
; COMPUTE_PGM_RSRC2:TGID_Y_EN: 1
; COMPUTE_PGM_RSRC2:TGID_Z_EN: 0
; COMPUTE_PGM_RSRC2:TIDIG_COMP_CNT: 1
	.section	.AMDGPU.gpr_maximums,"",@progbits
	.set amdgpu.max_num_vgpr, 0
	.set amdgpu.max_num_agpr, 0
	.set amdgpu.max_num_sgpr, 0
	.section	.AMDGPU.csdata,"",@progbits
	.type	__hip_cuid_bcc1fc2c8f4f9a37,@object ; @__hip_cuid_bcc1fc2c8f4f9a37
	.section	.bss,"aw",@nobits
	.globl	__hip_cuid_bcc1fc2c8f4f9a37
__hip_cuid_bcc1fc2c8f4f9a37:
	.byte	0                               ; 0x0
	.size	__hip_cuid_bcc1fc2c8f4f9a37, 1

	.ident	"AMD clang version 22.0.0git (https://github.com/RadeonOpenCompute/llvm-project roc-7.2.4 26084 f58b06dce1f9c15707c5f808fd002e18c2accf7e)"
	.section	".note.GNU-stack","",@progbits
	.addrsig
	.addrsig_sym __hip_cuid_bcc1fc2c8f4f9a37
	.amdgpu_metadata
---
amdhsa.kernels:
  - .args:
      - .offset:         0
        .size:           1
        .value_kind:     by_value
      - .offset:         4
        .size:           4
        .value_kind:     by_value
      - .offset:         8
        .size:           4
        .value_kind:     by_value
      - .offset:         12
        .size:           4
        .value_kind:     by_value
      - .offset:         16
        .size:           8
        .value_kind:     by_value
      - .offset:         24
        .size:           8
        .value_kind:     by_value
      - .offset:         32
        .size:           8
        .value_kind:     by_value
      - .actual_access:  read_only
        .address_space:  global
        .offset:         40
        .size:           8
        .value_kind:     global_buffer
      - .actual_access:  read_only
        .address_space:  global
        .offset:         48
        .size:           8
        .value_kind:     global_buffer
      - .actual_access:  read_only
        .address_space:  global
        .offset:         56
        .size:           8
        .value_kind:     global_buffer
      - .offset:         64
        .size:           4
        .value_kind:     by_value
      - .actual_access:  read_only
        .address_space:  global
        .offset:         72
        .size:           8
        .value_kind:     global_buffer
      - .offset:         80
        .size:           8
        .value_kind:     by_value
      - .offset:         88
        .size:           8
        .value_kind:     by_value
      - .offset:         96
        .size:           8
        .value_kind:     by_value
      - .address_space:  global
        .offset:         104
        .size:           8
        .value_kind:     global_buffer
      - .offset:         112
        .size:           8
        .value_kind:     by_value
      - .offset:         120
        .size:           8
        .value_kind:     by_value
      - .offset:         128
        .size:           4
        .value_kind:     by_value
      - .offset:         132
        .size:           4
        .value_kind:     by_value
      - .offset:         136
        .size:           1
        .value_kind:     by_value
    .group_segment_fixed_size: 8192
    .kernarg_segment_align: 8
    .kernarg_segment_size: 140
    .language:       OpenCL C
    .language_version:
      - 2
      - 0
    .max_flat_workgroup_size: 1024
    .name:           _ZN9rocsparseL29bsrmm_general_blockdim_kernelILj32ELj32EiiffffEEvb20rocsparse_direction_T2_S2_llNS_24const_host_device_scalarIT6_EEPKT1_PKS2_PKT3_S2_PKT4_llS5_PT5_ll16rocsparse_order_21rocsparse_index_base_b
    .private_segment_fixed_size: 0
    .sgpr_count:     36
    .sgpr_spill_count: 0
    .symbol:         _ZN9rocsparseL29bsrmm_general_blockdim_kernelILj32ELj32EiiffffEEvb20rocsparse_direction_T2_S2_llNS_24const_host_device_scalarIT6_EEPKT1_PKS2_PKT3_S2_PKT4_llS5_PT5_ll16rocsparse_order_21rocsparse_index_base_b.kd
    .uniform_work_group_size: 1
    .uses_dynamic_stack: false
    .vgpr_count:     36
    .vgpr_spill_count: 0
    .wavefront_size: 32
  - .args:
      - .offset:         0
        .size:           1
        .value_kind:     by_value
      - .offset:         4
        .size:           4
        .value_kind:     by_value
      - .offset:         8
        .size:           4
        .value_kind:     by_value
      - .offset:         12
        .size:           4
        .value_kind:     by_value
      - .offset:         16
        .size:           8
        .value_kind:     by_value
      - .offset:         24
        .size:           8
        .value_kind:     by_value
      - .offset:         32
        .size:           8
        .value_kind:     by_value
      - .actual_access:  read_only
        .address_space:  global
        .offset:         40
        .size:           8
        .value_kind:     global_buffer
      - .actual_access:  read_only
        .address_space:  global
        .offset:         48
        .size:           8
        .value_kind:     global_buffer
      - .actual_access:  read_only
        .address_space:  global
        .offset:         56
        .size:           8
        .value_kind:     global_buffer
      - .offset:         64
        .size:           4
        .value_kind:     by_value
      - .actual_access:  read_only
        .address_space:  global
        .offset:         72
        .size:           8
        .value_kind:     global_buffer
      - .offset:         80
        .size:           8
        .value_kind:     by_value
      - .offset:         88
        .size:           8
        .value_kind:     by_value
      - .offset:         96
        .size:           8
        .value_kind:     by_value
      - .address_space:  global
        .offset:         104
        .size:           8
        .value_kind:     global_buffer
      - .offset:         112
        .size:           8
        .value_kind:     by_value
      - .offset:         120
        .size:           8
        .value_kind:     by_value
      - .offset:         128
        .size:           4
        .value_kind:     by_value
      - .offset:         132
        .size:           4
        .value_kind:     by_value
      - .offset:         136
        .size:           1
        .value_kind:     by_value
    .group_segment_fixed_size: 8192
    .kernarg_segment_align: 8
    .kernarg_segment_size: 140
    .language:       OpenCL C
    .language_version:
      - 2
      - 0
    .max_flat_workgroup_size: 1024
    .name:           _ZN9rocsparseL29bsrmm_general_blockdim_kernelILj32ELj32EliffffEEvb20rocsparse_direction_T2_S2_llNS_24const_host_device_scalarIT6_EEPKT1_PKS2_PKT3_S2_PKT4_llS5_PT5_ll16rocsparse_order_21rocsparse_index_base_b
    .private_segment_fixed_size: 0
    .sgpr_count:     40
    .sgpr_spill_count: 0
    .symbol:         _ZN9rocsparseL29bsrmm_general_blockdim_kernelILj32ELj32EliffffEEvb20rocsparse_direction_T2_S2_llNS_24const_host_device_scalarIT6_EEPKT1_PKS2_PKT3_S2_PKT4_llS5_PT5_ll16rocsparse_order_21rocsparse_index_base_b.kd
    .uniform_work_group_size: 1
    .uses_dynamic_stack: false
    .vgpr_count:     36
    .vgpr_spill_count: 0
    .wavefront_size: 32
  - .args:
      - .offset:         0
        .size:           1
        .value_kind:     by_value
      - .offset:         4
        .size:           4
        .value_kind:     by_value
      - .offset:         8
        .size:           8
        .value_kind:     by_value
      - .offset:         16
        .size:           8
        .value_kind:     by_value
      - .offset:         24
        .size:           8
        .value_kind:     by_value
      - .offset:         32
        .size:           8
        .value_kind:     by_value
      - .offset:         40
        .size:           8
        .value_kind:     by_value
      - .actual_access:  read_only
        .address_space:  global
        .offset:         48
        .size:           8
        .value_kind:     global_buffer
      - .actual_access:  read_only
        .address_space:  global
        .offset:         56
        .size:           8
        .value_kind:     global_buffer
      - .actual_access:  read_only
        .address_space:  global
        .offset:         64
        .size:           8
        .value_kind:     global_buffer
      - .offset:         72
        .size:           8
        .value_kind:     by_value
      - .actual_access:  read_only
        .address_space:  global
        .offset:         80
        .size:           8
        .value_kind:     global_buffer
      - .offset:         88
        .size:           8
        .value_kind:     by_value
      - .offset:         96
        .size:           8
        .value_kind:     by_value
      - .offset:         104
        .size:           8
        .value_kind:     by_value
      - .address_space:  global
        .offset:         112
        .size:           8
        .value_kind:     global_buffer
      - .offset:         120
        .size:           8
        .value_kind:     by_value
      - .offset:         128
        .size:           8
        .value_kind:     by_value
      - .offset:         136
        .size:           4
        .value_kind:     by_value
      - .offset:         140
        .size:           4
        .value_kind:     by_value
      - .offset:         144
        .size:           1
        .value_kind:     by_value
    .group_segment_fixed_size: 8192
    .kernarg_segment_align: 8
    .kernarg_segment_size: 148
    .language:       OpenCL C
    .language_version:
      - 2
      - 0
    .max_flat_workgroup_size: 1024
    .name:           _ZN9rocsparseL29bsrmm_general_blockdim_kernelILj32ELj32EllffffEEvb20rocsparse_direction_T2_S2_llNS_24const_host_device_scalarIT6_EEPKT1_PKS2_PKT3_S2_PKT4_llS5_PT5_ll16rocsparse_order_21rocsparse_index_base_b
    .private_segment_fixed_size: 0
    .sgpr_count:     45
    .sgpr_spill_count: 0
    .symbol:         _ZN9rocsparseL29bsrmm_general_blockdim_kernelILj32ELj32EllffffEEvb20rocsparse_direction_T2_S2_llNS_24const_host_device_scalarIT6_EEPKT1_PKS2_PKT3_S2_PKT4_llS5_PT5_ll16rocsparse_order_21rocsparse_index_base_b.kd
    .uniform_work_group_size: 1
    .uses_dynamic_stack: false
    .vgpr_count:     52
    .vgpr_spill_count: 0
    .wavefront_size: 32
  - .args:
      - .offset:         0
        .size:           1
        .value_kind:     by_value
      - .offset:         4
        .size:           4
        .value_kind:     by_value
      - .offset:         8
        .size:           4
        .value_kind:     by_value
      - .offset:         12
        .size:           4
        .value_kind:     by_value
      - .offset:         16
        .size:           8
        .value_kind:     by_value
      - .offset:         24
        .size:           8
        .value_kind:     by_value
      - .offset:         32
        .size:           8
        .value_kind:     by_value
      - .actual_access:  read_only
        .address_space:  global
        .offset:         40
        .size:           8
        .value_kind:     global_buffer
      - .actual_access:  read_only
        .address_space:  global
        .offset:         48
        .size:           8
        .value_kind:     global_buffer
      - .actual_access:  read_only
        .address_space:  global
        .offset:         56
        .size:           8
        .value_kind:     global_buffer
      - .offset:         64
        .size:           4
        .value_kind:     by_value
      - .actual_access:  read_only
        .address_space:  global
        .offset:         72
        .size:           8
        .value_kind:     global_buffer
      - .offset:         80
        .size:           8
        .value_kind:     by_value
      - .offset:         88
        .size:           8
        .value_kind:     by_value
      - .offset:         96
        .size:           8
        .value_kind:     by_value
      - .address_space:  global
        .offset:         104
        .size:           8
        .value_kind:     global_buffer
      - .offset:         112
        .size:           8
        .value_kind:     by_value
      - .offset:         120
        .size:           8
        .value_kind:     by_value
      - .offset:         128
        .size:           4
        .value_kind:     by_value
      - .offset:         132
        .size:           4
        .value_kind:     by_value
      - .offset:         136
        .size:           1
        .value_kind:     by_value
    .group_segment_fixed_size: 16384
    .kernarg_segment_align: 8
    .kernarg_segment_size: 140
    .language:       OpenCL C
    .language_version:
      - 2
      - 0
    .max_flat_workgroup_size: 1024
    .name:           _ZN9rocsparseL29bsrmm_general_blockdim_kernelILj32ELj32EiiddddEEvb20rocsparse_direction_T2_S2_llNS_24const_host_device_scalarIT6_EEPKT1_PKS2_PKT3_S2_PKT4_llS5_PT5_ll16rocsparse_order_21rocsparse_index_base_b
    .private_segment_fixed_size: 0
    .sgpr_count:     33
    .sgpr_spill_count: 0
    .symbol:         _ZN9rocsparseL29bsrmm_general_blockdim_kernelILj32ELj32EiiddddEEvb20rocsparse_direction_T2_S2_llNS_24const_host_device_scalarIT6_EEPKT1_PKS2_PKT3_S2_PKT4_llS5_PT5_ll16rocsparse_order_21rocsparse_index_base_b.kd
    .uniform_work_group_size: 1
    .uses_dynamic_stack: false
    .vgpr_count:     42
    .vgpr_spill_count: 0
    .wavefront_size: 32
  - .args:
      - .offset:         0
        .size:           1
        .value_kind:     by_value
      - .offset:         4
        .size:           4
        .value_kind:     by_value
      - .offset:         8
        .size:           4
        .value_kind:     by_value
      - .offset:         12
        .size:           4
        .value_kind:     by_value
      - .offset:         16
        .size:           8
        .value_kind:     by_value
      - .offset:         24
        .size:           8
        .value_kind:     by_value
      - .offset:         32
        .size:           8
        .value_kind:     by_value
      - .actual_access:  read_only
        .address_space:  global
        .offset:         40
        .size:           8
        .value_kind:     global_buffer
      - .actual_access:  read_only
        .address_space:  global
        .offset:         48
        .size:           8
        .value_kind:     global_buffer
      - .actual_access:  read_only
        .address_space:  global
        .offset:         56
        .size:           8
        .value_kind:     global_buffer
      - .offset:         64
        .size:           4
        .value_kind:     by_value
      - .actual_access:  read_only
        .address_space:  global
        .offset:         72
        .size:           8
        .value_kind:     global_buffer
      - .offset:         80
        .size:           8
        .value_kind:     by_value
      - .offset:         88
        .size:           8
        .value_kind:     by_value
      - .offset:         96
        .size:           8
        .value_kind:     by_value
      - .address_space:  global
        .offset:         104
        .size:           8
        .value_kind:     global_buffer
      - .offset:         112
        .size:           8
        .value_kind:     by_value
      - .offset:         120
        .size:           8
        .value_kind:     by_value
      - .offset:         128
        .size:           4
        .value_kind:     by_value
      - .offset:         132
        .size:           4
        .value_kind:     by_value
      - .offset:         136
        .size:           1
        .value_kind:     by_value
    .group_segment_fixed_size: 16384
    .kernarg_segment_align: 8
    .kernarg_segment_size: 140
    .language:       OpenCL C
    .language_version:
      - 2
      - 0
    .max_flat_workgroup_size: 1024
    .name:           _ZN9rocsparseL29bsrmm_general_blockdim_kernelILj32ELj32EliddddEEvb20rocsparse_direction_T2_S2_llNS_24const_host_device_scalarIT6_EEPKT1_PKS2_PKT3_S2_PKT4_llS5_PT5_ll16rocsparse_order_21rocsparse_index_base_b
    .private_segment_fixed_size: 0
    .sgpr_count:     38
    .sgpr_spill_count: 0
    .symbol:         _ZN9rocsparseL29bsrmm_general_blockdim_kernelILj32ELj32EliddddEEvb20rocsparse_direction_T2_S2_llNS_24const_host_device_scalarIT6_EEPKT1_PKS2_PKT3_S2_PKT4_llS5_PT5_ll16rocsparse_order_21rocsparse_index_base_b.kd
    .uniform_work_group_size: 1
    .uses_dynamic_stack: false
    .vgpr_count:     40
    .vgpr_spill_count: 0
    .wavefront_size: 32
  - .args:
      - .offset:         0
        .size:           1
        .value_kind:     by_value
      - .offset:         4
        .size:           4
        .value_kind:     by_value
      - .offset:         8
        .size:           8
        .value_kind:     by_value
      - .offset:         16
        .size:           8
        .value_kind:     by_value
      - .offset:         24
        .size:           8
        .value_kind:     by_value
      - .offset:         32
        .size:           8
        .value_kind:     by_value
      - .offset:         40
        .size:           8
        .value_kind:     by_value
      - .actual_access:  read_only
        .address_space:  global
        .offset:         48
        .size:           8
        .value_kind:     global_buffer
      - .actual_access:  read_only
        .address_space:  global
        .offset:         56
        .size:           8
        .value_kind:     global_buffer
      - .actual_access:  read_only
        .address_space:  global
        .offset:         64
        .size:           8
        .value_kind:     global_buffer
      - .offset:         72
        .size:           8
        .value_kind:     by_value
      - .actual_access:  read_only
        .address_space:  global
        .offset:         80
        .size:           8
        .value_kind:     global_buffer
      - .offset:         88
        .size:           8
        .value_kind:     by_value
      - .offset:         96
        .size:           8
        .value_kind:     by_value
      - .offset:         104
        .size:           8
        .value_kind:     by_value
      - .address_space:  global
        .offset:         112
        .size:           8
        .value_kind:     global_buffer
      - .offset:         120
        .size:           8
        .value_kind:     by_value
      - .offset:         128
        .size:           8
        .value_kind:     by_value
      - .offset:         136
        .size:           4
        .value_kind:     by_value
      - .offset:         140
        .size:           4
        .value_kind:     by_value
      - .offset:         144
        .size:           1
        .value_kind:     by_value
    .group_segment_fixed_size: 16384
    .kernarg_segment_align: 8
    .kernarg_segment_size: 148
    .language:       OpenCL C
    .language_version:
      - 2
      - 0
    .max_flat_workgroup_size: 1024
    .name:           _ZN9rocsparseL29bsrmm_general_blockdim_kernelILj32ELj32EllddddEEvb20rocsparse_direction_T2_S2_llNS_24const_host_device_scalarIT6_EEPKT1_PKS2_PKT3_S2_PKT4_llS5_PT5_ll16rocsparse_order_21rocsparse_index_base_b
    .private_segment_fixed_size: 0
    .sgpr_count:     43
    .sgpr_spill_count: 0
    .symbol:         _ZN9rocsparseL29bsrmm_general_blockdim_kernelILj32ELj32EllddddEEvb20rocsparse_direction_T2_S2_llNS_24const_host_device_scalarIT6_EEPKT1_PKS2_PKT3_S2_PKT4_llS5_PT5_ll16rocsparse_order_21rocsparse_index_base_b.kd
    .uniform_work_group_size: 1
    .uses_dynamic_stack: false
    .vgpr_count:     58
    .vgpr_spill_count: 0
    .wavefront_size: 32
  - .args:
      - .offset:         0
        .size:           1
        .value_kind:     by_value
      - .offset:         4
        .size:           4
        .value_kind:     by_value
      - .offset:         8
        .size:           4
        .value_kind:     by_value
      - .offset:         12
        .size:           4
        .value_kind:     by_value
      - .offset:         16
        .size:           8
        .value_kind:     by_value
      - .offset:         24
        .size:           8
        .value_kind:     by_value
      - .offset:         32
        .size:           8
        .value_kind:     by_value
      - .actual_access:  read_only
        .address_space:  global
        .offset:         40
        .size:           8
        .value_kind:     global_buffer
      - .actual_access:  read_only
        .address_space:  global
        .offset:         48
        .size:           8
        .value_kind:     global_buffer
      - .actual_access:  read_only
        .address_space:  global
        .offset:         56
        .size:           8
        .value_kind:     global_buffer
      - .offset:         64
        .size:           4
        .value_kind:     by_value
      - .actual_access:  read_only
        .address_space:  global
        .offset:         72
        .size:           8
        .value_kind:     global_buffer
      - .offset:         80
        .size:           8
        .value_kind:     by_value
      - .offset:         88
        .size:           8
        .value_kind:     by_value
      - .offset:         96
        .size:           8
        .value_kind:     by_value
      - .address_space:  global
        .offset:         104
        .size:           8
        .value_kind:     global_buffer
      - .offset:         112
        .size:           8
        .value_kind:     by_value
      - .offset:         120
        .size:           8
        .value_kind:     by_value
      - .offset:         128
        .size:           4
        .value_kind:     by_value
      - .offset:         132
        .size:           4
        .value_kind:     by_value
      - .offset:         136
        .size:           1
        .value_kind:     by_value
    .group_segment_fixed_size: 16384
    .kernarg_segment_align: 8
    .kernarg_segment_size: 140
    .language:       OpenCL C
    .language_version:
      - 2
      - 0
    .max_flat_workgroup_size: 1024
    .name:           _ZN9rocsparseL29bsrmm_general_blockdim_kernelILj32ELj32Eii21rocsparse_complex_numIfES2_S2_S2_EEvb20rocsparse_direction_T2_S4_llNS_24const_host_device_scalarIT6_EEPKT1_PKS4_PKT3_S4_PKT4_llS7_PT5_ll16rocsparse_order_21rocsparse_index_base_b
    .private_segment_fixed_size: 0
    .sgpr_count:     33
    .sgpr_spill_count: 0
    .symbol:         _ZN9rocsparseL29bsrmm_general_blockdim_kernelILj32ELj32Eii21rocsparse_complex_numIfES2_S2_S2_EEvb20rocsparse_direction_T2_S4_llNS_24const_host_device_scalarIT6_EEPKT1_PKS4_PKT3_S4_PKT4_llS7_PT5_ll16rocsparse_order_21rocsparse_index_base_b.kd
    .uniform_work_group_size: 1
    .uses_dynamic_stack: false
    .vgpr_count:     48
    .vgpr_spill_count: 0
    .wavefront_size: 32
  - .args:
      - .offset:         0
        .size:           1
        .value_kind:     by_value
      - .offset:         4
        .size:           4
        .value_kind:     by_value
      - .offset:         8
        .size:           4
        .value_kind:     by_value
      - .offset:         12
        .size:           4
        .value_kind:     by_value
      - .offset:         16
        .size:           8
        .value_kind:     by_value
      - .offset:         24
        .size:           8
        .value_kind:     by_value
      - .offset:         32
        .size:           8
        .value_kind:     by_value
      - .actual_access:  read_only
        .address_space:  global
        .offset:         40
        .size:           8
        .value_kind:     global_buffer
      - .actual_access:  read_only
        .address_space:  global
        .offset:         48
        .size:           8
        .value_kind:     global_buffer
      - .actual_access:  read_only
        .address_space:  global
        .offset:         56
        .size:           8
        .value_kind:     global_buffer
      - .offset:         64
        .size:           4
        .value_kind:     by_value
      - .actual_access:  read_only
        .address_space:  global
        .offset:         72
        .size:           8
        .value_kind:     global_buffer
      - .offset:         80
        .size:           8
        .value_kind:     by_value
      - .offset:         88
        .size:           8
        .value_kind:     by_value
      - .offset:         96
        .size:           8
        .value_kind:     by_value
      - .address_space:  global
        .offset:         104
        .size:           8
        .value_kind:     global_buffer
      - .offset:         112
        .size:           8
        .value_kind:     by_value
      - .offset:         120
        .size:           8
        .value_kind:     by_value
      - .offset:         128
        .size:           4
        .value_kind:     by_value
      - .offset:         132
        .size:           4
        .value_kind:     by_value
      - .offset:         136
        .size:           1
        .value_kind:     by_value
    .group_segment_fixed_size: 16384
    .kernarg_segment_align: 8
    .kernarg_segment_size: 140
    .language:       OpenCL C
    .language_version:
      - 2
      - 0
    .max_flat_workgroup_size: 1024
    .name:           _ZN9rocsparseL29bsrmm_general_blockdim_kernelILj32ELj32Eli21rocsparse_complex_numIfES2_S2_S2_EEvb20rocsparse_direction_T2_S4_llNS_24const_host_device_scalarIT6_EEPKT1_PKS4_PKT3_S4_PKT4_llS7_PT5_ll16rocsparse_order_21rocsparse_index_base_b
    .private_segment_fixed_size: 0
    .sgpr_count:     38
    .sgpr_spill_count: 0
    .symbol:         _ZN9rocsparseL29bsrmm_general_blockdim_kernelILj32ELj32Eli21rocsparse_complex_numIfES2_S2_S2_EEvb20rocsparse_direction_T2_S4_llNS_24const_host_device_scalarIT6_EEPKT1_PKS4_PKT3_S4_PKT4_llS7_PT5_ll16rocsparse_order_21rocsparse_index_base_b.kd
    .uniform_work_group_size: 1
    .uses_dynamic_stack: false
    .vgpr_count:     48
    .vgpr_spill_count: 0
    .wavefront_size: 32
  - .args:
      - .offset:         0
        .size:           1
        .value_kind:     by_value
      - .offset:         4
        .size:           4
        .value_kind:     by_value
      - .offset:         8
        .size:           8
        .value_kind:     by_value
      - .offset:         16
        .size:           8
        .value_kind:     by_value
      - .offset:         24
        .size:           8
        .value_kind:     by_value
      - .offset:         32
        .size:           8
        .value_kind:     by_value
      - .offset:         40
        .size:           8
        .value_kind:     by_value
      - .actual_access:  read_only
        .address_space:  global
        .offset:         48
        .size:           8
        .value_kind:     global_buffer
      - .actual_access:  read_only
        .address_space:  global
        .offset:         56
        .size:           8
        .value_kind:     global_buffer
      - .actual_access:  read_only
        .address_space:  global
        .offset:         64
        .size:           8
        .value_kind:     global_buffer
      - .offset:         72
        .size:           8
        .value_kind:     by_value
      - .actual_access:  read_only
        .address_space:  global
        .offset:         80
        .size:           8
        .value_kind:     global_buffer
      - .offset:         88
        .size:           8
        .value_kind:     by_value
      - .offset:         96
        .size:           8
        .value_kind:     by_value
      - .offset:         104
        .size:           8
        .value_kind:     by_value
      - .address_space:  global
        .offset:         112
        .size:           8
        .value_kind:     global_buffer
      - .offset:         120
        .size:           8
        .value_kind:     by_value
      - .offset:         128
        .size:           8
        .value_kind:     by_value
      - .offset:         136
        .size:           4
        .value_kind:     by_value
      - .offset:         140
        .size:           4
        .value_kind:     by_value
      - .offset:         144
        .size:           1
        .value_kind:     by_value
    .group_segment_fixed_size: 16384
    .kernarg_segment_align: 8
    .kernarg_segment_size: 148
    .language:       OpenCL C
    .language_version:
      - 2
      - 0
    .max_flat_workgroup_size: 1024
    .name:           _ZN9rocsparseL29bsrmm_general_blockdim_kernelILj32ELj32Ell21rocsparse_complex_numIfES2_S2_S2_EEvb20rocsparse_direction_T2_S4_llNS_24const_host_device_scalarIT6_EEPKT1_PKS4_PKT3_S4_PKT4_llS7_PT5_ll16rocsparse_order_21rocsparse_index_base_b
    .private_segment_fixed_size: 0
    .sgpr_count:     49
    .sgpr_spill_count: 0
    .symbol:         _ZN9rocsparseL29bsrmm_general_blockdim_kernelILj32ELj32Ell21rocsparse_complex_numIfES2_S2_S2_EEvb20rocsparse_direction_T2_S4_llNS_24const_host_device_scalarIT6_EEPKT1_PKS4_PKT3_S4_PKT4_llS7_PT5_ll16rocsparse_order_21rocsparse_index_base_b.kd
    .uniform_work_group_size: 1
    .uses_dynamic_stack: false
    .vgpr_count:     60
    .vgpr_spill_count: 0
    .wavefront_size: 32
  - .args:
      - .offset:         0
        .size:           1
        .value_kind:     by_value
      - .offset:         4
        .size:           4
        .value_kind:     by_value
      - .offset:         8
        .size:           4
        .value_kind:     by_value
      - .offset:         12
        .size:           4
        .value_kind:     by_value
      - .offset:         16
        .size:           8
        .value_kind:     by_value
      - .offset:         24
        .size:           8
        .value_kind:     by_value
      - .offset:         32
        .size:           16
        .value_kind:     by_value
      - .actual_access:  read_only
        .address_space:  global
        .offset:         48
        .size:           8
        .value_kind:     global_buffer
      - .actual_access:  read_only
        .address_space:  global
        .offset:         56
        .size:           8
        .value_kind:     global_buffer
      - .actual_access:  read_only
        .address_space:  global
        .offset:         64
        .size:           8
        .value_kind:     global_buffer
      - .offset:         72
        .size:           4
        .value_kind:     by_value
      - .actual_access:  read_only
        .address_space:  global
        .offset:         80
        .size:           8
        .value_kind:     global_buffer
      - .offset:         88
        .size:           8
        .value_kind:     by_value
      - .offset:         96
        .size:           8
        .value_kind:     by_value
      - .offset:         104
        .size:           16
        .value_kind:     by_value
      - .address_space:  global
        .offset:         120
        .size:           8
        .value_kind:     global_buffer
      - .offset:         128
        .size:           8
        .value_kind:     by_value
      - .offset:         136
        .size:           8
        .value_kind:     by_value
      - .offset:         144
        .size:           4
        .value_kind:     by_value
      - .offset:         148
        .size:           4
        .value_kind:     by_value
      - .offset:         152
        .size:           1
        .value_kind:     by_value
    .group_segment_fixed_size: 32768
    .kernarg_segment_align: 8
    .kernarg_segment_size: 156
    .language:       OpenCL C
    .language_version:
      - 2
      - 0
    .max_flat_workgroup_size: 1024
    .name:           _ZN9rocsparseL29bsrmm_general_blockdim_kernelILj32ELj32Eii21rocsparse_complex_numIdES2_S2_S2_EEvb20rocsparse_direction_T2_S4_llNS_24const_host_device_scalarIT6_EEPKT1_PKS4_PKT3_S4_PKT4_llS7_PT5_ll16rocsparse_order_21rocsparse_index_base_b
    .private_segment_fixed_size: 0
    .sgpr_count:     32
    .sgpr_spill_count: 0
    .symbol:         _ZN9rocsparseL29bsrmm_general_blockdim_kernelILj32ELj32Eii21rocsparse_complex_numIdES2_S2_S2_EEvb20rocsparse_direction_T2_S4_llNS_24const_host_device_scalarIT6_EEPKT1_PKS4_PKT3_S4_PKT4_llS7_PT5_ll16rocsparse_order_21rocsparse_index_base_b.kd
    .uniform_work_group_size: 1
    .uses_dynamic_stack: false
    .vgpr_count:     50
    .vgpr_spill_count: 0
    .wavefront_size: 32
  - .args:
      - .offset:         0
        .size:           1
        .value_kind:     by_value
      - .offset:         4
        .size:           4
        .value_kind:     by_value
      - .offset:         8
        .size:           4
        .value_kind:     by_value
      - .offset:         12
        .size:           4
        .value_kind:     by_value
      - .offset:         16
        .size:           8
        .value_kind:     by_value
      - .offset:         24
        .size:           8
        .value_kind:     by_value
      - .offset:         32
        .size:           16
        .value_kind:     by_value
      - .actual_access:  read_only
        .address_space:  global
        .offset:         48
        .size:           8
        .value_kind:     global_buffer
      - .actual_access:  read_only
        .address_space:  global
        .offset:         56
        .size:           8
        .value_kind:     global_buffer
      - .actual_access:  read_only
        .address_space:  global
        .offset:         64
        .size:           8
        .value_kind:     global_buffer
      - .offset:         72
        .size:           4
        .value_kind:     by_value
      - .actual_access:  read_only
        .address_space:  global
        .offset:         80
        .size:           8
        .value_kind:     global_buffer
      - .offset:         88
        .size:           8
        .value_kind:     by_value
      - .offset:         96
        .size:           8
        .value_kind:     by_value
      - .offset:         104
        .size:           16
        .value_kind:     by_value
      - .address_space:  global
        .offset:         120
        .size:           8
        .value_kind:     global_buffer
      - .offset:         128
        .size:           8
        .value_kind:     by_value
      - .offset:         136
        .size:           8
        .value_kind:     by_value
      - .offset:         144
        .size:           4
        .value_kind:     by_value
      - .offset:         148
        .size:           4
        .value_kind:     by_value
      - .offset:         152
        .size:           1
        .value_kind:     by_value
    .group_segment_fixed_size: 32768
    .kernarg_segment_align: 8
    .kernarg_segment_size: 156
    .language:       OpenCL C
    .language_version:
      - 2
      - 0
    .max_flat_workgroup_size: 1024
    .name:           _ZN9rocsparseL29bsrmm_general_blockdim_kernelILj32ELj32Eli21rocsparse_complex_numIdES2_S2_S2_EEvb20rocsparse_direction_T2_S4_llNS_24const_host_device_scalarIT6_EEPKT1_PKS4_PKT3_S4_PKT4_llS7_PT5_ll16rocsparse_order_21rocsparse_index_base_b
    .private_segment_fixed_size: 0
    .sgpr_count:     39
    .sgpr_spill_count: 0
    .symbol:         _ZN9rocsparseL29bsrmm_general_blockdim_kernelILj32ELj32Eli21rocsparse_complex_numIdES2_S2_S2_EEvb20rocsparse_direction_T2_S4_llNS_24const_host_device_scalarIT6_EEPKT1_PKS4_PKT3_S4_PKT4_llS7_PT5_ll16rocsparse_order_21rocsparse_index_base_b.kd
    .uniform_work_group_size: 1
    .uses_dynamic_stack: false
    .vgpr_count:     48
    .vgpr_spill_count: 0
    .wavefront_size: 32
  - .args:
      - .offset:         0
        .size:           1
        .value_kind:     by_value
      - .offset:         4
        .size:           4
        .value_kind:     by_value
      - .offset:         8
        .size:           8
        .value_kind:     by_value
      - .offset:         16
        .size:           8
        .value_kind:     by_value
      - .offset:         24
        .size:           8
        .value_kind:     by_value
      - .offset:         32
        .size:           8
        .value_kind:     by_value
      - .offset:         40
        .size:           16
        .value_kind:     by_value
      - .actual_access:  read_only
        .address_space:  global
        .offset:         56
        .size:           8
        .value_kind:     global_buffer
      - .actual_access:  read_only
        .address_space:  global
        .offset:         64
        .size:           8
        .value_kind:     global_buffer
      - .actual_access:  read_only
        .address_space:  global
        .offset:         72
        .size:           8
        .value_kind:     global_buffer
      - .offset:         80
        .size:           8
        .value_kind:     by_value
      - .actual_access:  read_only
        .address_space:  global
        .offset:         88
        .size:           8
        .value_kind:     global_buffer
      - .offset:         96
        .size:           8
        .value_kind:     by_value
      - .offset:         104
        .size:           8
        .value_kind:     by_value
      - .offset:         112
        .size:           16
        .value_kind:     by_value
      - .address_space:  global
        .offset:         128
        .size:           8
        .value_kind:     global_buffer
      - .offset:         136
        .size:           8
        .value_kind:     by_value
      - .offset:         144
        .size:           8
        .value_kind:     by_value
      - .offset:         152
        .size:           4
        .value_kind:     by_value
      - .offset:         156
        .size:           4
        .value_kind:     by_value
      - .offset:         160
        .size:           1
        .value_kind:     by_value
    .group_segment_fixed_size: 32768
    .kernarg_segment_align: 8
    .kernarg_segment_size: 164
    .language:       OpenCL C
    .language_version:
      - 2
      - 0
    .max_flat_workgroup_size: 1024
    .name:           _ZN9rocsparseL29bsrmm_general_blockdim_kernelILj32ELj32Ell21rocsparse_complex_numIdES2_S2_S2_EEvb20rocsparse_direction_T2_S4_llNS_24const_host_device_scalarIT6_EEPKT1_PKS4_PKT3_S4_PKT4_llS7_PT5_ll16rocsparse_order_21rocsparse_index_base_b
    .private_segment_fixed_size: 0
    .sgpr_count:     43
    .sgpr_spill_count: 0
    .symbol:         _ZN9rocsparseL29bsrmm_general_blockdim_kernelILj32ELj32Ell21rocsparse_complex_numIdES2_S2_S2_EEvb20rocsparse_direction_T2_S4_llNS_24const_host_device_scalarIT6_EEPKT1_PKS4_PKT3_S4_PKT4_llS7_PT5_ll16rocsparse_order_21rocsparse_index_base_b.kd
    .uniform_work_group_size: 1
    .uses_dynamic_stack: false
    .vgpr_count:     62
    .vgpr_spill_count: 0
    .wavefront_size: 32
  - .args:
      - .offset:         0
        .size:           1
        .value_kind:     by_value
      - .offset:         4
        .size:           4
        .value_kind:     by_value
      - .offset:         8
        .size:           4
        .value_kind:     by_value
      - .offset:         12
        .size:           4
        .value_kind:     by_value
      - .offset:         16
        .size:           8
        .value_kind:     by_value
      - .offset:         24
        .size:           8
        .value_kind:     by_value
      - .offset:         32
        .size:           8
        .value_kind:     by_value
      - .actual_access:  read_only
        .address_space:  global
        .offset:         40
        .size:           8
        .value_kind:     global_buffer
      - .actual_access:  read_only
        .address_space:  global
        .offset:         48
        .size:           8
        .value_kind:     global_buffer
      - .actual_access:  read_only
        .address_space:  global
        .offset:         56
        .size:           8
        .value_kind:     global_buffer
      - .offset:         64
        .size:           4
        .value_kind:     by_value
      - .actual_access:  read_only
        .address_space:  global
        .offset:         72
        .size:           8
        .value_kind:     global_buffer
      - .offset:         80
        .size:           8
        .value_kind:     by_value
      - .offset:         88
        .size:           8
        .value_kind:     by_value
      - .offset:         96
        .size:           8
        .value_kind:     by_value
      - .address_space:  global
        .offset:         104
        .size:           8
        .value_kind:     global_buffer
      - .offset:         112
        .size:           8
        .value_kind:     by_value
      - .offset:         120
        .size:           8
        .value_kind:     by_value
      - .offset:         128
        .size:           4
        .value_kind:     by_value
      - .offset:         132
        .size:           4
        .value_kind:     by_value
      - .offset:         136
        .size:           1
        .value_kind:     by_value
    .group_segment_fixed_size: 8192
    .kernarg_segment_align: 8
    .kernarg_segment_size: 140
    .language:       OpenCL C
    .language_version:
      - 2
      - 0
    .max_flat_workgroup_size: 1024
    .name:           _ZN9rocsparseL29bsrmm_general_blockdim_kernelILj32ELj32EiiDF16_DF16_ffEEvb20rocsparse_direction_T2_S2_llNS_24const_host_device_scalarIT6_EEPKT1_PKS2_PKT3_S2_PKT4_llS5_PT5_ll16rocsparse_order_21rocsparse_index_base_b
    .private_segment_fixed_size: 0
    .sgpr_count:     36
    .sgpr_spill_count: 0
    .symbol:         _ZN9rocsparseL29bsrmm_general_blockdim_kernelILj32ELj32EiiDF16_DF16_ffEEvb20rocsparse_direction_T2_S2_llNS_24const_host_device_scalarIT6_EEPKT1_PKS2_PKT3_S2_PKT4_llS5_PT5_ll16rocsparse_order_21rocsparse_index_base_b.kd
    .uniform_work_group_size: 1
    .uses_dynamic_stack: false
    .vgpr_count:     36
    .vgpr_spill_count: 0
    .wavefront_size: 32
  - .args:
      - .offset:         0
        .size:           1
        .value_kind:     by_value
      - .offset:         4
        .size:           4
        .value_kind:     by_value
      - .offset:         8
        .size:           4
        .value_kind:     by_value
      - .offset:         12
        .size:           4
        .value_kind:     by_value
      - .offset:         16
        .size:           8
        .value_kind:     by_value
      - .offset:         24
        .size:           8
        .value_kind:     by_value
      - .offset:         32
        .size:           8
        .value_kind:     by_value
      - .actual_access:  read_only
        .address_space:  global
        .offset:         40
        .size:           8
        .value_kind:     global_buffer
      - .actual_access:  read_only
        .address_space:  global
        .offset:         48
        .size:           8
        .value_kind:     global_buffer
      - .actual_access:  read_only
        .address_space:  global
        .offset:         56
        .size:           8
        .value_kind:     global_buffer
      - .offset:         64
        .size:           4
        .value_kind:     by_value
      - .actual_access:  read_only
        .address_space:  global
        .offset:         72
        .size:           8
        .value_kind:     global_buffer
      - .offset:         80
        .size:           8
        .value_kind:     by_value
      - .offset:         88
        .size:           8
        .value_kind:     by_value
      - .offset:         96
        .size:           8
        .value_kind:     by_value
      - .address_space:  global
        .offset:         104
        .size:           8
        .value_kind:     global_buffer
      - .offset:         112
        .size:           8
        .value_kind:     by_value
      - .offset:         120
        .size:           8
        .value_kind:     by_value
      - .offset:         128
        .size:           4
        .value_kind:     by_value
      - .offset:         132
        .size:           4
        .value_kind:     by_value
      - .offset:         136
        .size:           1
        .value_kind:     by_value
    .group_segment_fixed_size: 8192
    .kernarg_segment_align: 8
    .kernarg_segment_size: 140
    .language:       OpenCL C
    .language_version:
      - 2
      - 0
    .max_flat_workgroup_size: 1024
    .name:           _ZN9rocsparseL29bsrmm_general_blockdim_kernelILj32ELj32EliDF16_DF16_ffEEvb20rocsparse_direction_T2_S2_llNS_24const_host_device_scalarIT6_EEPKT1_PKS2_PKT3_S2_PKT4_llS5_PT5_ll16rocsparse_order_21rocsparse_index_base_b
    .private_segment_fixed_size: 0
    .sgpr_count:     40
    .sgpr_spill_count: 0
    .symbol:         _ZN9rocsparseL29bsrmm_general_blockdim_kernelILj32ELj32EliDF16_DF16_ffEEvb20rocsparse_direction_T2_S2_llNS_24const_host_device_scalarIT6_EEPKT1_PKS2_PKT3_S2_PKT4_llS5_PT5_ll16rocsparse_order_21rocsparse_index_base_b.kd
    .uniform_work_group_size: 1
    .uses_dynamic_stack: false
    .vgpr_count:     36
    .vgpr_spill_count: 0
    .wavefront_size: 32
  - .args:
      - .offset:         0
        .size:           1
        .value_kind:     by_value
      - .offset:         4
        .size:           4
        .value_kind:     by_value
      - .offset:         8
        .size:           8
        .value_kind:     by_value
      - .offset:         16
        .size:           8
        .value_kind:     by_value
      - .offset:         24
        .size:           8
        .value_kind:     by_value
      - .offset:         32
        .size:           8
        .value_kind:     by_value
      - .offset:         40
        .size:           8
        .value_kind:     by_value
      - .actual_access:  read_only
        .address_space:  global
        .offset:         48
        .size:           8
        .value_kind:     global_buffer
      - .actual_access:  read_only
        .address_space:  global
        .offset:         56
        .size:           8
        .value_kind:     global_buffer
      - .actual_access:  read_only
        .address_space:  global
        .offset:         64
        .size:           8
        .value_kind:     global_buffer
      - .offset:         72
        .size:           8
        .value_kind:     by_value
      - .actual_access:  read_only
        .address_space:  global
        .offset:         80
        .size:           8
        .value_kind:     global_buffer
      - .offset:         88
        .size:           8
        .value_kind:     by_value
      - .offset:         96
        .size:           8
        .value_kind:     by_value
      - .offset:         104
        .size:           8
        .value_kind:     by_value
      - .address_space:  global
        .offset:         112
        .size:           8
        .value_kind:     global_buffer
      - .offset:         120
        .size:           8
        .value_kind:     by_value
      - .offset:         128
        .size:           8
        .value_kind:     by_value
      - .offset:         136
        .size:           4
        .value_kind:     by_value
      - .offset:         140
        .size:           4
        .value_kind:     by_value
      - .offset:         144
        .size:           1
        .value_kind:     by_value
    .group_segment_fixed_size: 8192
    .kernarg_segment_align: 8
    .kernarg_segment_size: 148
    .language:       OpenCL C
    .language_version:
      - 2
      - 0
    .max_flat_workgroup_size: 1024
    .name:           _ZN9rocsparseL29bsrmm_general_blockdim_kernelILj32ELj32EllDF16_DF16_ffEEvb20rocsparse_direction_T2_S2_llNS_24const_host_device_scalarIT6_EEPKT1_PKS2_PKT3_S2_PKT4_llS5_PT5_ll16rocsparse_order_21rocsparse_index_base_b
    .private_segment_fixed_size: 0
    .sgpr_count:     45
    .sgpr_spill_count: 0
    .symbol:         _ZN9rocsparseL29bsrmm_general_blockdim_kernelILj32ELj32EllDF16_DF16_ffEEvb20rocsparse_direction_T2_S2_llNS_24const_host_device_scalarIT6_EEPKT1_PKS2_PKT3_S2_PKT4_llS5_PT5_ll16rocsparse_order_21rocsparse_index_base_b.kd
    .uniform_work_group_size: 1
    .uses_dynamic_stack: false
    .vgpr_count:     52
    .vgpr_spill_count: 0
    .wavefront_size: 32
  - .args:
      - .offset:         0
        .size:           1
        .value_kind:     by_value
      - .offset:         4
        .size:           4
        .value_kind:     by_value
      - .offset:         8
        .size:           4
        .value_kind:     by_value
      - .offset:         12
        .size:           4
        .value_kind:     by_value
      - .offset:         16
        .size:           8
        .value_kind:     by_value
      - .offset:         24
        .size:           8
        .value_kind:     by_value
      - .offset:         32
        .size:           8
        .value_kind:     by_value
      - .actual_access:  read_only
        .address_space:  global
        .offset:         40
        .size:           8
        .value_kind:     global_buffer
      - .actual_access:  read_only
        .address_space:  global
        .offset:         48
        .size:           8
        .value_kind:     global_buffer
      - .actual_access:  read_only
        .address_space:  global
        .offset:         56
        .size:           8
        .value_kind:     global_buffer
      - .offset:         64
        .size:           4
        .value_kind:     by_value
      - .actual_access:  read_only
        .address_space:  global
        .offset:         72
        .size:           8
        .value_kind:     global_buffer
      - .offset:         80
        .size:           8
        .value_kind:     by_value
      - .offset:         88
        .size:           8
        .value_kind:     by_value
      - .offset:         96
        .size:           8
        .value_kind:     by_value
      - .address_space:  global
        .offset:         104
        .size:           8
        .value_kind:     global_buffer
      - .offset:         112
        .size:           8
        .value_kind:     by_value
      - .offset:         120
        .size:           8
        .value_kind:     by_value
      - .offset:         128
        .size:           4
        .value_kind:     by_value
      - .offset:         132
        .size:           4
        .value_kind:     by_value
      - .offset:         136
        .size:           1
        .value_kind:     by_value
    .group_segment_fixed_size: 8192
    .kernarg_segment_align: 8
    .kernarg_segment_size: 140
    .language:       OpenCL C
    .language_version:
      - 2
      - 0
    .max_flat_workgroup_size: 1024
    .name:           _ZN9rocsparseL29bsrmm_general_blockdim_kernelILj32ELj32EiiaaiiEEvb20rocsparse_direction_T2_S2_llNS_24const_host_device_scalarIT6_EEPKT1_PKS2_PKT3_S2_PKT4_llS5_PT5_ll16rocsparse_order_21rocsparse_index_base_b
    .private_segment_fixed_size: 0
    .sgpr_count:     36
    .sgpr_spill_count: 0
    .symbol:         _ZN9rocsparseL29bsrmm_general_blockdim_kernelILj32ELj32EiiaaiiEEvb20rocsparse_direction_T2_S2_llNS_24const_host_device_scalarIT6_EEPKT1_PKS2_PKT3_S2_PKT4_llS5_PT5_ll16rocsparse_order_21rocsparse_index_base_b.kd
    .uniform_work_group_size: 1
    .uses_dynamic_stack: false
    .vgpr_count:     34
    .vgpr_spill_count: 0
    .wavefront_size: 32
  - .args:
      - .offset:         0
        .size:           1
        .value_kind:     by_value
      - .offset:         4
        .size:           4
        .value_kind:     by_value
      - .offset:         8
        .size:           4
        .value_kind:     by_value
      - .offset:         12
        .size:           4
        .value_kind:     by_value
      - .offset:         16
        .size:           8
        .value_kind:     by_value
      - .offset:         24
        .size:           8
        .value_kind:     by_value
      - .offset:         32
        .size:           8
        .value_kind:     by_value
      - .actual_access:  read_only
        .address_space:  global
        .offset:         40
        .size:           8
        .value_kind:     global_buffer
      - .actual_access:  read_only
        .address_space:  global
        .offset:         48
        .size:           8
        .value_kind:     global_buffer
      - .actual_access:  read_only
        .address_space:  global
        .offset:         56
        .size:           8
        .value_kind:     global_buffer
      - .offset:         64
        .size:           4
        .value_kind:     by_value
      - .actual_access:  read_only
        .address_space:  global
        .offset:         72
        .size:           8
        .value_kind:     global_buffer
      - .offset:         80
        .size:           8
        .value_kind:     by_value
      - .offset:         88
        .size:           8
        .value_kind:     by_value
      - .offset:         96
        .size:           8
        .value_kind:     by_value
      - .address_space:  global
        .offset:         104
        .size:           8
        .value_kind:     global_buffer
      - .offset:         112
        .size:           8
        .value_kind:     by_value
      - .offset:         120
        .size:           8
        .value_kind:     by_value
      - .offset:         128
        .size:           4
        .value_kind:     by_value
      - .offset:         132
        .size:           4
        .value_kind:     by_value
      - .offset:         136
        .size:           1
        .value_kind:     by_value
    .group_segment_fixed_size: 8192
    .kernarg_segment_align: 8
    .kernarg_segment_size: 140
    .language:       OpenCL C
    .language_version:
      - 2
      - 0
    .max_flat_workgroup_size: 1024
    .name:           _ZN9rocsparseL29bsrmm_general_blockdim_kernelILj32ELj32EliaaiiEEvb20rocsparse_direction_T2_S2_llNS_24const_host_device_scalarIT6_EEPKT1_PKS2_PKT3_S2_PKT4_llS5_PT5_ll16rocsparse_order_21rocsparse_index_base_b
    .private_segment_fixed_size: 0
    .sgpr_count:     40
    .sgpr_spill_count: 0
    .symbol:         _ZN9rocsparseL29bsrmm_general_blockdim_kernelILj32ELj32EliaaiiEEvb20rocsparse_direction_T2_S2_llNS_24const_host_device_scalarIT6_EEPKT1_PKS2_PKT3_S2_PKT4_llS5_PT5_ll16rocsparse_order_21rocsparse_index_base_b.kd
    .uniform_work_group_size: 1
    .uses_dynamic_stack: false
    .vgpr_count:     34
    .vgpr_spill_count: 0
    .wavefront_size: 32
  - .args:
      - .offset:         0
        .size:           1
        .value_kind:     by_value
      - .offset:         4
        .size:           4
        .value_kind:     by_value
      - .offset:         8
        .size:           8
        .value_kind:     by_value
      - .offset:         16
        .size:           8
        .value_kind:     by_value
      - .offset:         24
        .size:           8
        .value_kind:     by_value
      - .offset:         32
        .size:           8
        .value_kind:     by_value
      - .offset:         40
        .size:           8
        .value_kind:     by_value
      - .actual_access:  read_only
        .address_space:  global
        .offset:         48
        .size:           8
        .value_kind:     global_buffer
      - .actual_access:  read_only
        .address_space:  global
        .offset:         56
        .size:           8
        .value_kind:     global_buffer
      - .actual_access:  read_only
        .address_space:  global
        .offset:         64
        .size:           8
        .value_kind:     global_buffer
      - .offset:         72
        .size:           8
        .value_kind:     by_value
      - .actual_access:  read_only
        .address_space:  global
        .offset:         80
        .size:           8
        .value_kind:     global_buffer
      - .offset:         88
        .size:           8
        .value_kind:     by_value
      - .offset:         96
        .size:           8
        .value_kind:     by_value
      - .offset:         104
        .size:           8
        .value_kind:     by_value
      - .address_space:  global
        .offset:         112
        .size:           8
        .value_kind:     global_buffer
      - .offset:         120
        .size:           8
        .value_kind:     by_value
      - .offset:         128
        .size:           8
        .value_kind:     by_value
      - .offset:         136
        .size:           4
        .value_kind:     by_value
      - .offset:         140
        .size:           4
        .value_kind:     by_value
      - .offset:         144
        .size:           1
        .value_kind:     by_value
    .group_segment_fixed_size: 8192
    .kernarg_segment_align: 8
    .kernarg_segment_size: 148
    .language:       OpenCL C
    .language_version:
      - 2
      - 0
    .max_flat_workgroup_size: 1024
    .name:           _ZN9rocsparseL29bsrmm_general_blockdim_kernelILj32ELj32EllaaiiEEvb20rocsparse_direction_T2_S2_llNS_24const_host_device_scalarIT6_EEPKT1_PKS2_PKT3_S2_PKT4_llS5_PT5_ll16rocsparse_order_21rocsparse_index_base_b
    .private_segment_fixed_size: 0
    .sgpr_count:     43
    .sgpr_spill_count: 0
    .symbol:         _ZN9rocsparseL29bsrmm_general_blockdim_kernelILj32ELj32EllaaiiEEvb20rocsparse_direction_T2_S2_llNS_24const_host_device_scalarIT6_EEPKT1_PKS2_PKT3_S2_PKT4_llS5_PT5_ll16rocsparse_order_21rocsparse_index_base_b.kd
    .uniform_work_group_size: 1
    .uses_dynamic_stack: false
    .vgpr_count:     50
    .vgpr_spill_count: 0
    .wavefront_size: 32
  - .args:
      - .offset:         0
        .size:           1
        .value_kind:     by_value
      - .offset:         4
        .size:           4
        .value_kind:     by_value
      - .offset:         8
        .size:           4
        .value_kind:     by_value
      - .offset:         12
        .size:           4
        .value_kind:     by_value
      - .offset:         16
        .size:           8
        .value_kind:     by_value
      - .offset:         24
        .size:           8
        .value_kind:     by_value
      - .offset:         32
        .size:           8
        .value_kind:     by_value
      - .actual_access:  read_only
        .address_space:  global
        .offset:         40
        .size:           8
        .value_kind:     global_buffer
      - .actual_access:  read_only
        .address_space:  global
        .offset:         48
        .size:           8
        .value_kind:     global_buffer
      - .actual_access:  read_only
        .address_space:  global
        .offset:         56
        .size:           8
        .value_kind:     global_buffer
      - .offset:         64
        .size:           4
        .value_kind:     by_value
      - .actual_access:  read_only
        .address_space:  global
        .offset:         72
        .size:           8
        .value_kind:     global_buffer
      - .offset:         80
        .size:           8
        .value_kind:     by_value
      - .offset:         88
        .size:           8
        .value_kind:     by_value
      - .offset:         96
        .size:           8
        .value_kind:     by_value
      - .address_space:  global
        .offset:         104
        .size:           8
        .value_kind:     global_buffer
      - .offset:         112
        .size:           8
        .value_kind:     by_value
      - .offset:         120
        .size:           8
        .value_kind:     by_value
      - .offset:         128
        .size:           4
        .value_kind:     by_value
      - .offset:         132
        .size:           4
        .value_kind:     by_value
      - .offset:         136
        .size:           1
        .value_kind:     by_value
    .group_segment_fixed_size: 8192
    .kernarg_segment_align: 8
    .kernarg_segment_size: 140
    .language:       OpenCL C
    .language_version:
      - 2
      - 0
    .max_flat_workgroup_size: 1024
    .name:           _ZN9rocsparseL29bsrmm_general_blockdim_kernelILj32ELj32EiiaaffEEvb20rocsparse_direction_T2_S2_llNS_24const_host_device_scalarIT6_EEPKT1_PKS2_PKT3_S2_PKT4_llS5_PT5_ll16rocsparse_order_21rocsparse_index_base_b
    .private_segment_fixed_size: 0
    .sgpr_count:     36
    .sgpr_spill_count: 0
    .symbol:         _ZN9rocsparseL29bsrmm_general_blockdim_kernelILj32ELj32EiiaaffEEvb20rocsparse_direction_T2_S2_llNS_24const_host_device_scalarIT6_EEPKT1_PKS2_PKT3_S2_PKT4_llS5_PT5_ll16rocsparse_order_21rocsparse_index_base_b.kd
    .uniform_work_group_size: 1
    .uses_dynamic_stack: false
    .vgpr_count:     36
    .vgpr_spill_count: 0
    .wavefront_size: 32
  - .args:
      - .offset:         0
        .size:           1
        .value_kind:     by_value
      - .offset:         4
        .size:           4
        .value_kind:     by_value
      - .offset:         8
        .size:           4
        .value_kind:     by_value
      - .offset:         12
        .size:           4
        .value_kind:     by_value
      - .offset:         16
        .size:           8
        .value_kind:     by_value
      - .offset:         24
        .size:           8
        .value_kind:     by_value
      - .offset:         32
        .size:           8
        .value_kind:     by_value
      - .actual_access:  read_only
        .address_space:  global
        .offset:         40
        .size:           8
        .value_kind:     global_buffer
      - .actual_access:  read_only
        .address_space:  global
        .offset:         48
        .size:           8
        .value_kind:     global_buffer
      - .actual_access:  read_only
        .address_space:  global
        .offset:         56
        .size:           8
        .value_kind:     global_buffer
      - .offset:         64
        .size:           4
        .value_kind:     by_value
      - .actual_access:  read_only
        .address_space:  global
        .offset:         72
        .size:           8
        .value_kind:     global_buffer
      - .offset:         80
        .size:           8
        .value_kind:     by_value
      - .offset:         88
        .size:           8
        .value_kind:     by_value
      - .offset:         96
        .size:           8
        .value_kind:     by_value
      - .address_space:  global
        .offset:         104
        .size:           8
        .value_kind:     global_buffer
      - .offset:         112
        .size:           8
        .value_kind:     by_value
      - .offset:         120
        .size:           8
        .value_kind:     by_value
      - .offset:         128
        .size:           4
        .value_kind:     by_value
      - .offset:         132
        .size:           4
        .value_kind:     by_value
      - .offset:         136
        .size:           1
        .value_kind:     by_value
    .group_segment_fixed_size: 8192
    .kernarg_segment_align: 8
    .kernarg_segment_size: 140
    .language:       OpenCL C
    .language_version:
      - 2
      - 0
    .max_flat_workgroup_size: 1024
    .name:           _ZN9rocsparseL29bsrmm_general_blockdim_kernelILj32ELj32EliaaffEEvb20rocsparse_direction_T2_S2_llNS_24const_host_device_scalarIT6_EEPKT1_PKS2_PKT3_S2_PKT4_llS5_PT5_ll16rocsparse_order_21rocsparse_index_base_b
    .private_segment_fixed_size: 0
    .sgpr_count:     40
    .sgpr_spill_count: 0
    .symbol:         _ZN9rocsparseL29bsrmm_general_blockdim_kernelILj32ELj32EliaaffEEvb20rocsparse_direction_T2_S2_llNS_24const_host_device_scalarIT6_EEPKT1_PKS2_PKT3_S2_PKT4_llS5_PT5_ll16rocsparse_order_21rocsparse_index_base_b.kd
    .uniform_work_group_size: 1
    .uses_dynamic_stack: false
    .vgpr_count:     36
    .vgpr_spill_count: 0
    .wavefront_size: 32
  - .args:
      - .offset:         0
        .size:           1
        .value_kind:     by_value
      - .offset:         4
        .size:           4
        .value_kind:     by_value
      - .offset:         8
        .size:           8
        .value_kind:     by_value
      - .offset:         16
        .size:           8
        .value_kind:     by_value
      - .offset:         24
        .size:           8
        .value_kind:     by_value
      - .offset:         32
        .size:           8
        .value_kind:     by_value
      - .offset:         40
        .size:           8
        .value_kind:     by_value
      - .actual_access:  read_only
        .address_space:  global
        .offset:         48
        .size:           8
        .value_kind:     global_buffer
      - .actual_access:  read_only
        .address_space:  global
        .offset:         56
        .size:           8
        .value_kind:     global_buffer
      - .actual_access:  read_only
        .address_space:  global
        .offset:         64
        .size:           8
        .value_kind:     global_buffer
      - .offset:         72
        .size:           8
        .value_kind:     by_value
      - .actual_access:  read_only
        .address_space:  global
        .offset:         80
        .size:           8
        .value_kind:     global_buffer
      - .offset:         88
        .size:           8
        .value_kind:     by_value
      - .offset:         96
        .size:           8
        .value_kind:     by_value
      - .offset:         104
        .size:           8
        .value_kind:     by_value
      - .address_space:  global
        .offset:         112
        .size:           8
        .value_kind:     global_buffer
      - .offset:         120
        .size:           8
        .value_kind:     by_value
      - .offset:         128
        .size:           8
        .value_kind:     by_value
      - .offset:         136
        .size:           4
        .value_kind:     by_value
      - .offset:         140
        .size:           4
        .value_kind:     by_value
      - .offset:         144
        .size:           1
        .value_kind:     by_value
    .group_segment_fixed_size: 8192
    .kernarg_segment_align: 8
    .kernarg_segment_size: 148
    .language:       OpenCL C
    .language_version:
      - 2
      - 0
    .max_flat_workgroup_size: 1024
    .name:           _ZN9rocsparseL29bsrmm_general_blockdim_kernelILj32ELj32EllaaffEEvb20rocsparse_direction_T2_S2_llNS_24const_host_device_scalarIT6_EEPKT1_PKS2_PKT3_S2_PKT4_llS5_PT5_ll16rocsparse_order_21rocsparse_index_base_b
    .private_segment_fixed_size: 0
    .sgpr_count:     43
    .sgpr_spill_count: 0
    .symbol:         _ZN9rocsparseL29bsrmm_general_blockdim_kernelILj32ELj32EllaaffEEvb20rocsparse_direction_T2_S2_llNS_24const_host_device_scalarIT6_EEPKT1_PKS2_PKT3_S2_PKT4_llS5_PT5_ll16rocsparse_order_21rocsparse_index_base_b.kd
    .uniform_work_group_size: 1
    .uses_dynamic_stack: false
    .vgpr_count:     52
    .vgpr_spill_count: 0
    .wavefront_size: 32
amdhsa.target:   amdgcn-amd-amdhsa--gfx1250
amdhsa.version:
  - 1
  - 2
...

	.end_amdgpu_metadata
